;; amdgpu-corpus repo=ROCm/rocFFT kind=compiled arch=gfx906 opt=O3
	.text
	.amdgcn_target "amdgcn-amd-amdhsa--gfx906"
	.amdhsa_code_object_version 6
	.protected	bluestein_single_fwd_len320_dim1_sp_op_CI_CI ; -- Begin function bluestein_single_fwd_len320_dim1_sp_op_CI_CI
	.globl	bluestein_single_fwd_len320_dim1_sp_op_CI_CI
	.p2align	8
	.type	bluestein_single_fwd_len320_dim1_sp_op_CI_CI,@function
bluestein_single_fwd_len320_dim1_sp_op_CI_CI: ; @bluestein_single_fwd_len320_dim1_sp_op_CI_CI
; %bb.0:
	s_load_dwordx4 s[16:19], s[4:5], 0x28
	v_lshrrev_b32_e32 v1, 4, v0
	v_lshl_or_b32 v45, s6, 2, v1
	v_mov_b32_e32 v46, 0
	s_waitcnt lgkmcnt(0)
	v_cmp_gt_u64_e32 vcc, s[16:17], v[45:46]
	s_and_saveexec_b64 s[0:1], vcc
	s_cbranch_execz .LBB0_2
; %bb.1:
	s_load_dwordx4 s[0:3], s[4:5], 0x18
	s_load_dwordx4 s[8:11], s[4:5], 0x0
	v_and_b32_e32 v157, 15, v0
	v_mov_b32_e32 v9, s19
	v_lshlrev_b32_e32 v47, 3, v157
	s_waitcnt lgkmcnt(0)
	s_load_dwordx4 s[12:15], s[0:1], 0x0
	s_add_u32 s6, s8, 0xa00
	s_addc_u32 s7, s9, 0
	global_load_dwordx2 v[109:110], v47, s[8:9]
	v_mul_u32_u24_e32 v48, 0x140, v1
	s_waitcnt lgkmcnt(0)
	v_mad_u64_u32 v[2:3], s[0:1], s14, v45, 0
	v_mad_u64_u32 v[4:5], s[0:1], s12, v157, 0
	v_or_b32_e32 v1, v48, v157
	v_lshlrev_b32_e32 v156, 3, v1
	v_mad_u64_u32 v[6:7], s[0:1], s15, v45, v[3:4]
	s_lshl_b64 s[14:15], s[12:13], 8
	v_mov_b32_e32 v38, s15
	v_mad_u64_u32 v[7:8], s[0:1], s13, v157, v[5:6]
	v_mov_b32_e32 v3, v6
	v_lshlrev_b64 v[2:3], 3, v[2:3]
	v_mov_b32_e32 v5, v7
	v_add_co_u32_e32 v6, vcc, s18, v2
	v_addc_co_u32_e32 v7, vcc, v9, v3, vcc
	v_lshlrev_b64 v[2:3], 3, v[4:5]
	v_lshl_or_b32 v155, v48, 3, v47
	v_add_co_u32_e32 v2, vcc, v6, v2
	v_addc_co_u32_e32 v3, vcc, v7, v3, vcc
	global_load_dwordx2 v[4:5], v[2:3], off
	v_add_co_u32_e32 v2, vcc, s14, v2
	v_addc_co_u32_e32 v3, vcc, v3, v38, vcc
	global_load_dwordx2 v[6:7], v[2:3], off
	global_load_dwordx2 v[107:108], v47, s[8:9] offset:256
	v_add_co_u32_e32 v2, vcc, s14, v2
	v_addc_co_u32_e32 v3, vcc, v3, v38, vcc
	global_load_dwordx2 v[8:9], v[2:3], off
	global_load_dwordx2 v[105:106], v47, s[8:9] offset:512
	v_add_co_u32_e32 v2, vcc, s14, v2
	v_addc_co_u32_e32 v3, vcc, v3, v38, vcc
	v_add_co_u32_e32 v1, vcc, s14, v2
	global_load_dwordx2 v[103:104], v47, s[8:9] offset:768
	global_load_dwordx2 v[10:11], v[2:3], off
	v_addc_co_u32_e32 v2, vcc, v3, v38, vcc
	s_load_dwordx4 s[0:3], s[2:3], 0x0
	global_load_dwordx2 v[101:102], v47, s[8:9] offset:1024
	global_load_dwordx2 v[97:98], v47, s[8:9] offset:1280
	;; [unrolled: 1-line block ×9, first 2 shown]
	global_load_dwordx2 v[12:13], v[1:2], off
	v_add_co_u32_e32 v1, vcc, s14, v1
	v_addc_co_u32_e32 v2, vcc, v2, v38, vcc
	global_load_dwordx2 v[14:15], v[1:2], off
	v_add_co_u32_e32 v1, vcc, s14, v1
	v_addc_co_u32_e32 v2, vcc, v2, v38, vcc
	global_load_dwordx2 v[16:17], v[1:2], off
	v_add_co_u32_e32 v1, vcc, s14, v1
	v_addc_co_u32_e32 v2, vcc, v2, v38, vcc
	global_load_dwordx2 v[18:19], v[1:2], off
	v_add_co_u32_e32 v1, vcc, s14, v1
	v_addc_co_u32_e32 v2, vcc, v2, v38, vcc
	global_load_dwordx2 v[20:21], v[1:2], off
	v_add_co_u32_e32 v1, vcc, s14, v1
	v_addc_co_u32_e32 v2, vcc, v2, v38, vcc
	v_mov_b32_e32 v158, 0xfffff780
	s_mulk_i32 s13, 0xf780
	global_load_dwordx2 v[111:112], v47, s[8:9] offset:2304
	v_add_u32_e32 v159, 0x800, v155
	v_or_b32_e32 v0, 48, v0
	v_add_u32_e32 v169, 0x400, v156
	s_load_dwordx2 s[4:5], s[4:5], 0x38
	s_waitcnt vmcnt(21)
	v_mul_f32_e32 v3, v5, v110
	v_mul_f32_e32 v22, v4, v110
	v_fmac_f32_e32 v3, v4, v109
	v_fma_f32 v4, v5, v109, -v22
	ds_write_b64 v156, v[3:4]
	s_waitcnt vmcnt(19)
	v_mul_f32_e32 v5, v7, v108
	v_mul_f32_e32 v22, v6, v108
	v_fmac_f32_e32 v5, v6, v107
	v_fma_f32 v6, v7, v107, -v22
	ds_write_b64 v156, v[5:6] offset:256
	s_waitcnt vmcnt(17)
	v_mul_f32_e32 v3, v9, v106
	v_mul_f32_e32 v4, v8, v106
	v_fmac_f32_e32 v3, v8, v105
	v_fma_f32 v4, v9, v105, -v4
	ds_write_b64 v155, v[3:4] offset:512
	global_load_dwordx2 v[3:4], v[1:2], off
	v_mad_u64_u32 v[1:2], s[16:17], s12, v158, v[1:2]
	s_sub_i32 s12, s13, s12
	s_waitcnt vmcnt(16)
	v_mul_f32_e32 v5, v11, v104
	v_add_u32_e32 v2, s12, v2
	global_load_dwordx2 v[7:8], v[1:2], off
	v_add_co_u32_e32 v1, vcc, s14, v1
	v_addc_co_u32_e32 v2, vcc, v2, v38, vcc
	global_load_dwordx2 v[22:23], v[1:2], off
	v_add_co_u32_e32 v1, vcc, s14, v1
	v_addc_co_u32_e32 v2, vcc, v2, v38, vcc
	;; [unrolled: 3-line block ×4, first 2 shown]
	global_load_dwordx2 v[28:29], v[1:2], off
	global_load_dwordx2 v[75:76], v47, s[8:9] offset:1408
	global_load_dwordx2 v[99:100], v47, s[8:9] offset:1152
	v_add_co_u32_e32 v1, vcc, s14, v1
	v_addc_co_u32_e32 v2, vcc, v2, v38, vcc
	global_load_dwordx2 v[30:31], v[1:2], off
	v_add_co_u32_e32 v1, vcc, s14, v1
	v_addc_co_u32_e32 v2, vcc, v2, v38, vcc
	global_load_dwordx2 v[32:33], v[1:2], off
	global_load_dwordx2 v[77:78], v47, s[8:9] offset:1920
	global_load_dwordx2 v[81:82], v47, s[8:9] offset:1664
	v_add_co_u32_e32 v1, vcc, s14, v1
	v_addc_co_u32_e32 v2, vcc, v2, v38, vcc
	global_load_dwordx2 v[34:35], v[1:2], off
	v_add_co_u32_e32 v1, vcc, s14, v1
	v_addc_co_u32_e32 v2, vcc, v2, v38, vcc
	global_load_dwordx2 v[36:37], v[1:2], off
	global_load_dwordx2 v[79:80], v47, s[8:9] offset:2432
	global_load_dwordx2 v[87:88], v47, s[8:9] offset:2176
	v_add_co_u32_e32 v1, vcc, s14, v1
	v_addc_co_u32_e32 v2, vcc, v2, v38, vcc
	global_load_dwordx2 v[1:2], v[1:2], off
	v_mul_f32_e32 v6, v10, v104
	v_fmac_f32_e32 v5, v10, v103
	v_fma_f32 v6, v11, v103, -v6
	ds_write_b64 v155, v[5:6] offset:768
	s_waitcnt vmcnt(22)
	v_mul_f32_e32 v5, v13, v102
	v_mul_f32_e32 v6, v12, v102
	v_fmac_f32_e32 v5, v12, v101
	v_fma_f32 v6, v13, v101, -v6
	ds_write_b64 v155, v[5:6] offset:1024
	s_waitcnt vmcnt(21)
	v_mul_f32_e32 v5, v15, v98
	;; [unrolled: 6-line block ×6, first 2 shown]
	v_fmac_f32_e32 v5, v3, v111
	v_mul_f32_e32 v3, v3, v112
	v_fma_f32 v6, v4, v111, -v3
	ds_write_b64 v155, v[5:6] offset:2304
	s_waitcnt vmcnt(15)
	v_mul_f32_e32 v3, v8, v90
	v_mul_f32_e32 v4, v7, v90
	v_fmac_f32_e32 v3, v7, v89
	v_fma_f32 v4, v8, v89, -v4
	ds_write_b64 v156, v[3:4] offset:128
	s_waitcnt vmcnt(14)
	v_mul_f32_e32 v3, v23, v86
	v_mul_f32_e32 v4, v22, v86
	v_fmac_f32_e32 v3, v22, v85
	;; [unrolled: 6-line block ×9, first 2 shown]
	v_fma_f32 v4, v37, v87, -v4
	ds_write_b64 v155, v[3:4] offset:2176
	s_waitcnt vmcnt(0)
	v_mul_f32_e32 v3, v2, v80
	v_fmac_f32_e32 v3, v1, v79
	v_mul_f32_e32 v1, v1, v80
	v_fma_f32 v4, v2, v79, -v1
	ds_write_b64 v155, v[3:4] offset:2432
	s_waitcnt lgkmcnt(0)
	; wave barrier
	s_waitcnt lgkmcnt(0)
	ds_read2_b64 v[1:4], v156 offset1:16
	ds_read2_b64 v[5:8], v156 offset0:32 offset1:48
	ds_read2_b64 v[49:52], v155 offset0:64 offset1:80
	;; [unrolled: 1-line block ×7, first 2 shown]
	ds_read2_b64 v[61:64], v159 offset1:16
	ds_read2_b64 v[17:20], v159 offset0:32 offset1:48
	s_waitcnt lgkmcnt(5)
	v_sub_f32_e32 v30, v49, v53
	v_add_f32_e32 v25, v1, v49
	s_waitcnt lgkmcnt(3)
	v_add_f32_e32 v26, v53, v57
	v_fma_f32 v26, -0.5, v26, v1
	s_waitcnt lgkmcnt(1)
	v_sub_f32_e32 v27, v50, v62
	v_mov_b32_e32 v28, v26
	v_fmac_f32_e32 v28, 0x3f737871, v27
	v_sub_f32_e32 v29, v54, v58
	v_sub_f32_e32 v31, v61, v57
	v_fmac_f32_e32 v26, 0xbf737871, v27
	v_fmac_f32_e32 v28, 0x3f167918, v29
	v_add_f32_e32 v30, v30, v31
	v_fmac_f32_e32 v26, 0xbf167918, v29
	v_fmac_f32_e32 v28, 0x3e9e377a, v30
	;; [unrolled: 1-line block ×3, first 2 shown]
	v_add_f32_e32 v30, v49, v61
	v_fma_f32 v1, -0.5, v30, v1
	v_mov_b32_e32 v30, v1
	v_fmac_f32_e32 v30, 0xbf737871, v29
	v_fmac_f32_e32 v1, 0x3f737871, v29
	v_fmac_f32_e32 v30, 0x3f167918, v27
	v_fmac_f32_e32 v1, 0xbf167918, v27
	v_add_f32_e32 v27, v54, v58
	v_sub_f32_e32 v31, v53, v49
	v_sub_f32_e32 v32, v57, v61
	v_fma_f32 v65, -0.5, v27, v2
	v_add_f32_e32 v31, v31, v32
	v_sub_f32_e32 v27, v49, v61
	v_mov_b32_e32 v32, v65
	v_fmac_f32_e32 v30, 0x3e9e377a, v31
	v_fmac_f32_e32 v1, 0x3e9e377a, v31
	;; [unrolled: 1-line block ×3, first 2 shown]
	v_sub_f32_e32 v29, v53, v57
	v_sub_f32_e32 v31, v50, v54
	;; [unrolled: 1-line block ×3, first 2 shown]
	v_fmac_f32_e32 v65, 0x3f737871, v27
	v_fmac_f32_e32 v32, 0xbf167918, v29
	v_add_f32_e32 v31, v31, v33
	v_fmac_f32_e32 v65, 0x3f167918, v29
	v_fmac_f32_e32 v32, 0x3e9e377a, v31
	;; [unrolled: 1-line block ×3, first 2 shown]
	v_add_f32_e32 v31, v50, v62
	v_fma_f32 v49, -0.5, v31, v2
	v_add_f32_e32 v25, v25, v53
	v_mov_b32_e32 v53, v49
	v_fmac_f32_e32 v53, 0x3f737871, v29
	v_fmac_f32_e32 v49, 0xbf737871, v29
	v_add_f32_e32 v29, v21, v9
	v_sub_f32_e32 v31, v54, v50
	v_sub_f32_e32 v33, v58, v62
	v_fma_f32 v42, -0.5, v29, v5
	v_fmac_f32_e32 v53, 0xbf167918, v27
	v_add_f32_e32 v31, v31, v33
	v_fmac_f32_e32 v49, 0x3f167918, v27
	s_waitcnt lgkmcnt(0)
	v_sub_f32_e32 v29, v14, v18
	v_mov_b32_e32 v34, v42
	v_fmac_f32_e32 v53, 0x3e9e377a, v31
	v_fmac_f32_e32 v49, 0x3e9e377a, v31
	;; [unrolled: 1-line block ×3, first 2 shown]
	v_sub_f32_e32 v31, v22, v10
	v_sub_f32_e32 v33, v13, v21
	;; [unrolled: 1-line block ×3, first 2 shown]
	v_fmac_f32_e32 v42, 0xbf737871, v29
	v_fmac_f32_e32 v34, 0x3f167918, v31
	v_add_f32_e32 v33, v33, v35
	v_fmac_f32_e32 v42, 0xbf167918, v31
	v_fmac_f32_e32 v34, 0x3e9e377a, v33
	;; [unrolled: 1-line block ×3, first 2 shown]
	v_add_f32_e32 v33, v13, v17
	v_add_f32_e32 v27, v5, v13
	v_fma_f32 v5, -0.5, v33, v5
	v_mov_b32_e32 v36, v5
	v_fmac_f32_e32 v36, 0xbf737871, v31
	v_fmac_f32_e32 v5, 0x3f737871, v31
	v_add_f32_e32 v27, v27, v21
	v_fmac_f32_e32 v36, 0x3f167918, v29
	v_fmac_f32_e32 v5, 0xbf167918, v29
	v_add_f32_e32 v29, v22, v10
	v_add_f32_e32 v25, v25, v57
	;; [unrolled: 1-line block ×3, first 2 shown]
	v_fma_f32 v57, -0.5, v29, v6
	v_add_f32_e32 v27, v27, v17
	v_sub_f32_e32 v33, v21, v13
	v_sub_f32_e32 v35, v9, v17
	;; [unrolled: 1-line block ×3, first 2 shown]
	v_mov_b32_e32 v17, v57
	v_fmac_f32_e32 v17, 0xbf737871, v13
	v_sub_f32_e32 v9, v21, v9
	v_sub_f32_e32 v21, v14, v22
	;; [unrolled: 1-line block ×3, first 2 shown]
	v_fmac_f32_e32 v57, 0x3f737871, v13
	v_fmac_f32_e32 v17, 0xbf167918, v9
	v_add_f32_e32 v21, v21, v29
	v_fmac_f32_e32 v57, 0x3f167918, v9
	v_fmac_f32_e32 v17, 0x3e9e377a, v21
	;; [unrolled: 1-line block ×3, first 2 shown]
	v_add_f32_e32 v21, v14, v18
	v_fma_f32 v21, -0.5, v21, v6
	v_add_f32_e32 v33, v33, v35
	v_mov_b32_e32 v38, v21
	v_sub_f32_e32 v29, v22, v14
	v_sub_f32_e32 v31, v10, v18
	v_fmac_f32_e32 v21, 0xbf737871, v9
	v_fmac_f32_e32 v5, 0x3e9e377a, v33
	v_add_f32_e32 v29, v29, v31
	v_fmac_f32_e32 v21, 0x3f167918, v13
	v_fmac_f32_e32 v21, 0x3e9e377a, v29
	v_mul_f32_e32 v40, 0xbe9e377a, v5
	v_add_f32_e32 v25, v25, v61
	v_fmac_f32_e32 v40, 0x3f737871, v21
	v_fmac_f32_e32 v36, 0x3e9e377a, v33
	v_add_f32_e32 v33, v25, v27
	v_add_f32_e32 v39, v1, v40
	v_sub_f32_e32 v43, v25, v27
	v_sub_f32_e32 v25, v1, v40
	v_add_f32_e32 v1, v2, v50
	v_add_f32_e32 v6, v6, v14
	v_add_f32_e32 v1, v1, v54
	v_add_f32_e32 v6, v6, v22
	v_fmac_f32_e32 v38, 0x3f737871, v9
	v_mul_f32_e32 v9, 0x3f4f1bbd, v34
	v_mul_f32_e32 v44, 0xbf4f1bbd, v42
	v_add_f32_e32 v1, v1, v58
	v_add_f32_e32 v6, v6, v10
	v_fmac_f32_e32 v38, 0xbf167918, v13
	v_fmac_f32_e32 v9, 0x3f167918, v17
	v_fmac_f32_e32 v44, 0x3f167918, v57
	v_add_f32_e32 v1, v1, v62
	v_add_f32_e32 v6, v6, v18
	v_fmac_f32_e32 v38, 0x3e9e377a, v29
	v_add_f32_e32 v35, v28, v9
	v_add_f32_e32 v41, v26, v44
	v_sub_f32_e32 v29, v28, v9
	v_sub_f32_e32 v27, v26, v44
	v_mul_f32_e32 v9, 0xbf167918, v34
	v_add_f32_e32 v34, v1, v6
	v_sub_f32_e32 v44, v1, v6
	v_mul_f32_e32 v6, 0xbe9e377a, v21
	v_fmac_f32_e32 v6, 0xbf737871, v5
	v_mul_f32_e32 v5, 0xbf4f1bbd, v57
	v_fmac_f32_e32 v5, 0xbf167918, v42
	v_add_f32_e32 v42, v65, v5
	v_sub_f32_e32 v28, v65, v5
	v_add_f32_e32 v5, v55, v59
	v_mul_f32_e32 v13, 0x3f737871, v38
	v_mad_u64_u32 v[113:114], s[12:13], s2, v45, 0
	v_fma_f32 v18, -0.5, v5, v3
	v_fmac_f32_e32 v13, 0x3e9e377a, v36
	v_fmac_f32_e32 v9, 0x3f4f1bbd, v17
	v_sub_f32_e32 v5, v52, v64
	v_mov_b32_e32 v17, v18
	v_add_f32_e32 v37, v30, v13
	v_sub_f32_e32 v31, v30, v13
	v_mul_f32_e32 v2, 0xbf737871, v36
	v_add_f32_e32 v36, v32, v9
	v_add_f32_e32 v40, v49, v6
	v_sub_f32_e32 v30, v32, v9
	v_sub_f32_e32 v26, v49, v6
	v_fmac_f32_e32 v17, 0x3f737871, v5
	v_sub_f32_e32 v6, v56, v60
	v_sub_f32_e32 v9, v51, v55
	;; [unrolled: 1-line block ×3, first 2 shown]
	v_fmac_f32_e32 v18, 0xbf737871, v5
	v_fmac_f32_e32 v17, 0x3f167918, v6
	v_add_f32_e32 v9, v9, v10
	v_fmac_f32_e32 v18, 0xbf167918, v6
	v_fmac_f32_e32 v2, 0x3e9e377a, v38
	v_mov_b32_e32 v1, v114
	v_fmac_f32_e32 v17, 0x3e9e377a, v9
	v_fmac_f32_e32 v18, 0x3e9e377a, v9
	v_add_f32_e32 v9, v51, v63
	v_mad_u64_u32 v[114:115], s[2:3], s3, v45, v[1:2]
	v_add_f32_e32 v38, v53, v2
	v_sub_f32_e32 v32, v53, v2
	v_add_f32_e32 v2, v3, v51
	v_fma_f32 v3, -0.5, v9, v3
	v_mov_b32_e32 v21, v3
	v_fmac_f32_e32 v21, 0xbf737871, v6
	v_fmac_f32_e32 v3, 0x3f737871, v6
	;; [unrolled: 1-line block ×4, first 2 shown]
	v_add_f32_e32 v5, v4, v52
	v_add_f32_e32 v5, v5, v56
	;; [unrolled: 1-line block ×5, first 2 shown]
	v_sub_f32_e32 v9, v55, v51
	v_sub_f32_e32 v10, v59, v63
	v_fma_f32 v49, -0.5, v5, v4
	v_add_f32_e32 v9, v9, v10
	v_sub_f32_e32 v10, v51, v63
	v_mov_b32_e32 v50, v49
	v_sub_f32_e32 v5, v55, v59
	v_sub_f32_e32 v6, v52, v56
	v_fmac_f32_e32 v50, 0xbf737871, v10
	v_sub_f32_e32 v13, v64, v60
	v_fmac_f32_e32 v49, 0x3f737871, v10
	v_fmac_f32_e32 v50, 0xbf167918, v5
	v_add_f32_e32 v6, v6, v13
	v_fmac_f32_e32 v49, 0x3f167918, v5
	v_fmac_f32_e32 v50, 0x3e9e377a, v6
	v_fmac_f32_e32 v49, 0x3e9e377a, v6
	v_add_f32_e32 v6, v52, v64
	v_fmac_f32_e32 v4, -0.5, v6
	v_mov_b32_e32 v51, v4
	v_fmac_f32_e32 v51, 0x3f737871, v5
	v_fmac_f32_e32 v4, 0xbf737871, v5
	v_add_f32_e32 v5, v7, v15
	v_add_f32_e32 v5, v5, v23
	;; [unrolled: 1-line block ×3, first 2 shown]
	v_fmac_f32_e32 v21, 0x3e9e377a, v9
	v_fmac_f32_e32 v3, 0x3e9e377a, v9
	v_sub_f32_e32 v9, v56, v52
	v_sub_f32_e32 v6, v60, v64
	v_add_f32_e32 v52, v5, v19
	v_add_f32_e32 v5, v23, v11
	v_fmac_f32_e32 v51, 0xbf167918, v10
	v_add_f32_e32 v6, v9, v6
	v_fmac_f32_e32 v4, 0x3f167918, v10
	v_fma_f32 v14, -0.5, v5, v7
	v_fmac_f32_e32 v51, 0x3e9e377a, v6
	v_fmac_f32_e32 v4, 0x3e9e377a, v6
	v_sub_f32_e32 v5, v16, v20
	v_mov_b32_e32 v6, v14
	v_fmac_f32_e32 v6, 0x3f737871, v5
	v_sub_f32_e32 v9, v24, v12
	v_sub_f32_e32 v10, v15, v23
	;; [unrolled: 1-line block ×3, first 2 shown]
	v_fmac_f32_e32 v14, 0xbf737871, v5
	v_fmac_f32_e32 v6, 0x3f167918, v9
	v_add_f32_e32 v10, v10, v13
	v_fmac_f32_e32 v14, 0xbf167918, v9
	v_fmac_f32_e32 v6, 0x3e9e377a, v10
	;; [unrolled: 1-line block ×3, first 2 shown]
	v_add_f32_e32 v10, v15, v19
	v_fma_f32 v53, -0.5, v10, v7
	v_mov_b32_e32 v54, v53
	v_fmac_f32_e32 v54, 0xbf737871, v9
	v_fmac_f32_e32 v53, 0x3f737871, v9
	;; [unrolled: 1-line block ×4, first 2 shown]
	v_add_f32_e32 v5, v8, v16
	v_add_f32_e32 v5, v5, v24
	;; [unrolled: 1-line block ×6, first 2 shown]
	v_sub_f32_e32 v7, v23, v15
	v_sub_f32_e32 v10, v11, v19
	v_fma_f32 v56, -0.5, v5, v8
	v_add_f32_e32 v7, v7, v10
	v_sub_f32_e32 v5, v15, v19
	v_mov_b32_e32 v15, v56
	v_fmac_f32_e32 v54, 0x3e9e377a, v7
	v_fmac_f32_e32 v53, 0x3e9e377a, v7
	;; [unrolled: 1-line block ×3, first 2 shown]
	v_sub_f32_e32 v7, v23, v11
	v_sub_f32_e32 v9, v16, v24
	;; [unrolled: 1-line block ×3, first 2 shown]
	v_fmac_f32_e32 v56, 0x3f737871, v5
	v_fmac_f32_e32 v15, 0xbf167918, v7
	v_add_f32_e32 v9, v9, v10
	v_fmac_f32_e32 v56, 0x3f167918, v7
	v_fmac_f32_e32 v15, 0x3e9e377a, v9
	;; [unrolled: 1-line block ×3, first 2 shown]
	v_add_f32_e32 v9, v16, v20
	v_fmac_f32_e32 v8, -0.5, v9
	v_mov_b32_e32 v19, v8
	v_sub_f32_e32 v9, v24, v16
	v_sub_f32_e32 v10, v12, v20
	v_fmac_f32_e32 v8, 0xbf737871, v7
	v_fmac_f32_e32 v19, 0x3f737871, v7
	v_add_f32_e32 v9, v9, v10
	v_fmac_f32_e32 v8, 0x3f167918, v5
	v_add_f32_e32 v2, v2, v59
	v_fmac_f32_e32 v19, 0xbf167918, v5
	v_fmac_f32_e32 v8, 0x3e9e377a, v9
	v_add_f32_e32 v2, v2, v63
	v_fmac_f32_e32 v19, 0x3e9e377a, v9
	v_mul_f32_e32 v16, 0x3f4f1bbd, v6
	v_mul_f32_e32 v57, 0xbf167918, v6
	;; [unrolled: 1-line block ×3, first 2 shown]
	v_or_b32_e32 v1, 16, v157
	v_add_f32_e32 v9, v2, v52
	v_fmac_f32_e32 v16, 0x3f167918, v15
	v_mul_f32_e32 v20, 0x3f737871, v19
	v_mul_f32_e32 v23, 0xbe9e377a, v53
	v_fmac_f32_e32 v57, 0x3f4f1bbd, v15
	v_fmac_f32_e32 v58, 0xbf737871, v53
	v_sub_f32_e32 v15, v2, v52
	v_mul_u32_u24_e32 v2, 10, v157
	v_add_f32_e32 v11, v17, v16
	v_fmac_f32_e32 v20, 0x3e9e377a, v54
	v_fmac_f32_e32 v23, 0x3f737871, v8
	v_mul_f32_e32 v24, 0xbf4f1bbd, v14
	v_add_f32_e32 v10, v22, v55
	v_mul_f32_e32 v54, 0xbf737871, v54
	v_add_f32_e32 v8, v4, v58
	v_mul_f32_e32 v53, 0xbf4f1bbd, v56
	v_sub_f32_e32 v17, v17, v16
	v_sub_f32_e32 v16, v22, v55
	;; [unrolled: 1-line block ×3, first 2 shown]
	v_add_lshl_u32 v163, v48, v2, 3
	v_mul_u32_u24_e32 v2, 10, v1
	v_mul_lo_u16_e32 v4, 26, v1
	v_or_b32_e32 v45, 32, v157
	v_fmac_f32_e32 v24, 0x3f167918, v56
	v_add_f32_e32 v12, v50, v57
	v_fmac_f32_e32 v54, 0x3e9e377a, v19
	v_fmac_f32_e32 v53, 0xbf167918, v14
	s_waitcnt lgkmcnt(0)
	; wave barrier
	ds_write_b128 v163, v[33:36]
	ds_write_b128 v163, v[37:40] offset:16
	ds_write_b128 v163, v[41:44] offset:32
	;; [unrolled: 1-line block ×4, first 2 shown]
	v_add_lshl_u32 v160, v48, v2, 3
	v_lshrrev_b16_e32 v43, 8, v4
	v_add_f32_e32 v5, v21, v20
	v_add_f32_e32 v7, v3, v23
	;; [unrolled: 1-line block ×5, first 2 shown]
	v_sub_f32_e32 v19, v21, v20
	v_sub_f32_e32 v21, v3, v23
	;; [unrolled: 1-line block ×6, first 2 shown]
	ds_write_b128 v160, v[9:12]
	ds_write_b128 v160, v[5:8] offset:16
	ds_write_b128 v160, v[13:16] offset:32
	;; [unrolled: 1-line block ×4, first 2 shown]
	v_mul_lo_u16_e32 v4, 10, v43
	v_mul_lo_u16_e32 v55, 26, v45
	v_mov_b32_e32 v17, 10
	v_sub_u16_e32 v44, v1, v4
	v_mul_lo_u16_sdwa v9, v55, v17 dst_sel:DWORD dst_unused:UNUSED_PAD src0_sel:BYTE_1 src1_sel:DWORD
	v_add_u32_e32 v2, -10, v157
	v_cmp_gt_u32_e32 vcc, 10, v157
	v_and_b32_e32 v1, 0xff, v44
	v_sub_u16_e32 v9, v45, v9
	v_cndmask_b32_e32 v42, v2, v157, vcc
	v_mad_u64_u32 v[13:14], s[2:3], v1, 24, s[10:11]
	v_and_b32_e32 v56, 0xff, v9
	v_mul_i32_i24_e32 v3, 24, v42
	v_mad_u64_u32 v[15:16], s[2:3], v56, 24, s[10:11]
	v_mul_hi_i32_i24_e32 v2, 24, v42
	v_mov_b32_e32 v29, s11
	v_add_co_u32_e32 v21, vcc, s10, v3
	v_addc_co_u32_e32 v22, vcc, v29, v2, vcc
	v_mul_lo_u16_e32 v57, 26, v0
	s_waitcnt lgkmcnt(0)
	; wave barrier
	s_waitcnt lgkmcnt(0)
	global_load_dwordx4 v[1:4], v[21:22], off
	global_load_dwordx4 v[5:8], v[13:14], off
	global_load_dwordx2 v[119:120], v[13:14], off offset:16
	global_load_dwordx4 v[9:12], v[15:16], off
	global_load_dwordx2 v[115:116], v[15:16], off offset:16
	v_mul_lo_u16_sdwa v13, v57, v17 dst_sel:DWORD dst_unused:UNUSED_PAD src0_sel:BYTE_1 src1_sel:DWORD
	v_sub_u16_e32 v0, v0, v13
	v_and_b32_e32 v58, 0xff, v0
	v_or_b32_e32 v0, 64, v157
	v_mad_u64_u32 v[23:24], s[2:3], v58, 24, s[10:11]
	v_mul_lo_u16_e32 v17, 0x67, v0
	v_lshrrev_b16_e32 v59, 10, v17
	v_mul_lo_u16_e32 v17, 10, v59
	v_sub_u16_e32 v0, v0, v17
	global_load_dwordx4 v[13:16], v[23:24], off
	v_and_b32_e32 v60, 0xff, v0
	v_mad_u64_u32 v[25:26], s[2:3], v60, 24, s[10:11]
	global_load_dwordx4 v[17:20], v[25:26], off
	global_load_dwordx2 v[117:118], v[21:22], off offset:16
	global_load_dwordx2 v[123:124], v[23:24], off offset:16
	;; [unrolled: 1-line block ×3, first 2 shown]
	ds_read2_b64 v[21:24], v156 offset0:160 offset1:176
	ds_read2_b64 v[25:28], v156 offset0:224 offset1:240
	;; [unrolled: 1-line block ×3, first 2 shown]
	v_add_u32_e32 v0, 0x800, v156
	ds_read2_b64 v[34:37], v0 offset1:16
	ds_read2_b64 v[38:41], v156 offset0:192 offset1:208
	ds_read2_b64 v[49:52], v156 offset0:128 offset1:144
	v_cmp_lt_u32_e32 vcc, 9, v157
	s_waitcnt vmcnt(9) lgkmcnt(5)
	v_mul_f32_e32 v53, v22, v4
	v_fma_f32 v53, v21, v3, -v53
	v_mul_f32_e32 v54, v21, v4
	s_waitcnt vmcnt(8)
	v_mul_f32_e32 v21, v24, v8
	v_fma_f32 v61, v23, v7, -v21
	s_waitcnt lgkmcnt(3)
	v_mul_f32_e32 v21, v31, v6
	v_fma_f32 v63, v30, v5, -v21
	s_waitcnt vmcnt(6)
	v_mul_f32_e32 v21, v33, v10
	v_fma_f32 v65, v32, v9, -v21
	s_waitcnt lgkmcnt(2)
	v_mul_f32_e32 v21, v35, v120
	v_fma_f32 v67, v34, v119, -v21
	;; [unrolled: 6-line block ×3, first 2 shown]
	v_mul_f32_e32 v38, v38, v12
	s_waitcnt vmcnt(4)
	v_mul_f32_e32 v21, v41, v16
	v_fmac_f32_e32 v38, v39, v11
	v_fma_f32 v39, v40, v15, -v21
	v_mul_f32_e32 v40, v40, v16
	s_waitcnt lgkmcnt(0)
	v_mul_f32_e32 v21, v50, v14
	v_fmac_f32_e32 v40, v41, v15
	v_fma_f32 v41, v49, v13, -v21
	v_mul_f32_e32 v49, v49, v14
	s_waitcnt vmcnt(3)
	v_mul_f32_e32 v21, v52, v18
	v_mul_f32_e32 v62, v23, v8
	v_fmac_f32_e32 v49, v50, v13
	v_fma_f32 v50, v51, v17, -v21
	s_waitcnt vmcnt(2)
	v_mul_f32_e32 v21, v28, v118
	v_fmac_f32_e32 v54, v22, v3
	v_fmac_f32_e32 v62, v24, v7
	v_mul_f32_e32 v64, v30, v6
	v_fma_f32 v30, v27, v117, -v21
	ds_read2_b64 v[21:24], v0 offset0:32 offset1:48
	v_fmac_f32_e32 v64, v31, v5
	v_mul_f32_e32 v51, v51, v18
	v_mul_f32_e32 v31, v27, v118
	;; [unrolled: 1-line block ×3, first 2 shown]
	v_fmac_f32_e32 v51, v52, v17
	v_fma_f32 v52, v25, v19, -v27
	v_mul_f32_e32 v72, v25, v20
	s_waitcnt vmcnt(1) lgkmcnt(0)
	v_mul_f32_e32 v25, v22, v124
	v_fmac_f32_e32 v31, v28, v117
	v_fmac_f32_e32 v72, v26, v19
	v_fma_f32 v125, v21, v123, -v25
	ds_read2_b64 v[25:28], v156 offset0:64 offset1:80
	v_mul_f32_e32 v126, v21, v124
	s_waitcnt vmcnt(0)
	v_mul_f32_e32 v21, v24, v122
	v_mul_f32_e32 v128, v23, v122
	v_fmac_f32_e32 v126, v22, v123
	v_fma_f32 v127, v23, v121, -v21
	v_fmac_f32_e32 v128, v24, v121
	ds_read2_b64 v[21:24], v156 offset1:16
	v_mul_f32_e32 v66, v32, v10
	s_waitcnt lgkmcnt(1)
	v_mul_f32_e32 v32, v28, v2
	v_fma_f32 v32, v27, v1, -v32
	v_mul_f32_e32 v27, v27, v2
	v_mul_f32_e32 v70, v36, v116
	v_fmac_f32_e32 v27, v28, v1
	v_fmac_f32_e32 v70, v37, v115
	s_waitcnt lgkmcnt(0)
	v_sub_f32_e32 v37, v22, v54
	v_sub_f32_e32 v31, v27, v31
	v_fmac_f32_e32 v66, v33, v9
	v_mul_f32_e32 v68, v34, v120
	v_sub_f32_e32 v33, v21, v53
	v_sub_f32_e32 v30, v32, v30
	v_fma_f32 v27, v27, 2.0, -v31
	v_fma_f32 v34, v22, 2.0, -v37
	;; [unrolled: 1-line block ×4, first 2 shown]
	v_sub_f32_e32 v22, v34, v27
	v_fmac_f32_e32 v68, v35, v119
	v_sub_f32_e32 v21, v32, v28
	v_fma_f32 v28, v34, 2.0, -v22
	v_sub_f32_e32 v34, v33, v31
	v_add_f32_e32 v35, v37, v30
	v_cndmask_b32_e64 v30, 0, 40, vcc
	v_fma_f32 v27, v32, 2.0, -v21
	v_fma_f32 v36, v33, 2.0, -v34
	v_add_u32_e32 v42, v42, v30
	ds_read2_b64 v[30:33], v156 offset0:32 offset1:48
	v_fma_f32 v37, v37, 2.0, -v35
	v_add_lshl_u32 v161, v48, v42, 3
	s_waitcnt lgkmcnt(0)
	; wave barrier
	s_waitcnt lgkmcnt(0)
	ds_write2_b64 v161, v[27:28], v[36:37] offset1:10
	ds_write2_b64 v161, v[21:22], v[34:35] offset0:20 offset1:30
	v_sub_f32_e32 v34, v23, v61
	v_sub_f32_e32 v35, v24, v62
	;; [unrolled: 1-line block ×4, first 2 shown]
	v_fma_f32 v23, v23, 2.0, -v34
	v_fma_f32 v24, v24, 2.0, -v35
	v_fma_f32 v21, v63, 2.0, -v28
	v_fma_f32 v22, v64, 2.0, -v27
	v_mad_legacy_u16 v36, v43, 40, v44
	v_sub_f32_e32 v21, v23, v21
	v_sub_f32_e32 v22, v24, v22
	v_sub_f32_e32 v27, v34, v27
	v_add_f32_e32 v28, v35, v28
	v_and_b32_e32 v36, 0xff, v36
	v_fma_f32 v23, v23, 2.0, -v21
	v_fma_f32 v24, v24, 2.0, -v22
	;; [unrolled: 1-line block ×4, first 2 shown]
	v_add_lshl_u32 v162, v48, v36, 3
	v_sub_f32_e32 v43, v33, v40
	ds_write2_b64 v162, v[23:24], v[34:35] offset1:10
	v_sub_f32_e32 v35, v31, v38
	v_sub_f32_e32 v42, v32, v39
	v_fma_f32 v37, v33, 2.0, -v43
	v_sub_f32_e32 v33, v66, v70
	v_sub_f32_e32 v34, v30, v71
	v_fma_f32 v31, v31, 2.0, -v35
	v_fma_f32 v36, v32, 2.0, -v42
	v_sub_f32_e32 v32, v65, v69
	v_fma_f32 v24, v66, 2.0, -v33
	v_fma_f32 v30, v30, 2.0, -v34
	v_sub_f32_e32 v54, v26, v72
	v_fma_f32 v23, v65, 2.0, -v32
	v_sub_f32_e32 v24, v31, v24
	v_sub_f32_e32 v44, v25, v52
	v_fma_f32 v53, v26, 2.0, -v54
	v_sub_f32_e32 v23, v30, v23
	v_fma_f32 v26, v31, 2.0, -v24
	v_add_f32_e32 v31, v35, v32
	v_sub_f32_e32 v38, v49, v126
	ds_write2_b64 v162, v[21:22], v[27:28] offset0:20 offset1:30
	v_mov_b32_e32 v21, 40
	v_fma_f32 v52, v25, 2.0, -v44
	v_fma_f32 v25, v30, 2.0, -v23
	v_sub_f32_e32 v30, v34, v33
	v_fma_f32 v33, v35, 2.0, -v31
	v_sub_f32_e32 v39, v41, v125
	;; [unrolled: 2-line block ×3, first 2 shown]
	v_sub_f32_e32 v61, v50, v127
	v_mul_u32_u24_sdwa v22, v55, v21 dst_sel:DWORD dst_unused:UNUSED_PAD src0_sel:BYTE_1 src1_sel:DWORD
	v_mul_u32_u24_sdwa v21, v57, v21 dst_sel:DWORD dst_unused:UNUSED_PAD src0_sel:BYTE_1 src1_sel:DWORD
	v_fma_f32 v32, v34, 2.0, -v30
	v_fma_f32 v34, v41, 2.0, -v39
	v_add_f32_e32 v39, v43, v39
	v_fma_f32 v40, v42, 2.0, -v38
	v_sub_f32_e32 v62, v51, v128
	v_fma_f32 v42, v50, 2.0, -v61
	v_add_u32_e32 v21, v21, v58
	v_fma_f32 v41, v43, 2.0, -v39
	v_fma_f32 v43, v51, 2.0, -v62
	v_sub_f32_e32 v42, v52, v42
	v_add_lshl_u32 v164, v48, v21, 3
	v_mul_u32_u24_e32 v21, 40, v59
	v_sub_f32_e32 v34, v36, v34
	v_sub_f32_e32 v35, v37, v35
	;; [unrolled: 1-line block ×3, first 2 shown]
	v_fma_f32 v49, v52, 2.0, -v42
	v_sub_f32_e32 v51, v44, v62
	v_add_f32_e32 v52, v54, v61
	v_add_u32_e32 v22, v22, v56
	v_add_u32_e32 v21, v21, v60
	v_fma_f32 v36, v36, 2.0, -v34
	v_fma_f32 v37, v37, 2.0, -v35
	;; [unrolled: 1-line block ×5, first 2 shown]
	v_add_lshl_u32 v167, v48, v22, 3
	v_add_lshl_u32 v165, v48, v21, 3
	ds_write2_b64 v167, v[25:26], v[32:33] offset1:10
	ds_write2_b64 v167, v[23:24], v[30:31] offset0:20 offset1:30
	ds_write2_b64 v164, v[36:37], v[40:41] offset1:10
	ds_write2_b64 v164, v[34:35], v[38:39] offset0:20 offset1:30
	ds_write2_b64 v165, v[49:50], v[53:54] offset1:10
	v_mad_u64_u32 v[49:50], s[2:3], v157, 24, s[10:11]
	ds_write2_b64 v165, v[42:43], v[51:52] offset0:20 offset1:30
	s_waitcnt lgkmcnt(0)
	; wave barrier
	s_waitcnt lgkmcnt(0)
	global_load_dwordx4 v[21:24], v[49:50], off offset:240
	global_load_dwordx4 v[25:28], v[49:50], off offset:624
	v_cmp_gt_u64_e32 vcc, 40, v[45:46]
	v_add_u32_e32 v30, -8, v157
	v_cndmask_b32_e32 v57, v30, v45, vcc
	v_mul_i32_i24_e32 v31, 24, v57
	v_mul_hi_i32_i24_e32 v30, 24, v57
	v_add_co_u32_e32 v41, vcc, s10, v31
	v_addc_co_u32_e32 v42, vcc, v29, v30, vcc
	global_load_dwordx4 v[29:32], v[41:42], off offset:240
	global_load_dwordx2 v[127:128], v[49:50], off offset:640
	global_load_dwordx2 v[125:126], v[41:42], off offset:256
	global_load_dwordx4 v[33:36], v[49:50], off offset:432
	global_load_dwordx4 v[37:40], v[49:50], off offset:816
	global_load_dwordx2 v[133:134], v[49:50], off offset:256
	global_load_dwordx2 v[131:132], v[49:50], off offset:448
	;; [unrolled: 1-line block ×3, first 2 shown]
	ds_read2_b64 v[41:44], v156 offset0:160 offset1:176
	ds_read2_b64 v[49:52], v156 offset0:96 offset1:112
	v_cmp_lt_u64_e32 vcc, 39, v[45:46]
	s_mov_b32 s2, 0x9999999a
	s_mov_b32 s3, 0x3f699999
	s_waitcnt vmcnt(9) lgkmcnt(1)
	v_mul_f32_e32 v53, v42, v24
	v_fma_f32 v53, v41, v23, -v53
	v_mul_f32_e32 v54, v41, v24
	s_waitcnt vmcnt(8) lgkmcnt(0)
	v_mul_f32_e32 v41, v50, v26
	v_fma_f32 v58, v49, v25, -v41
	v_mul_f32_e32 v41, v44, v28
	v_mul_f32_e32 v56, v43, v28
	v_fmac_f32_e32 v54, v42, v23
	v_fma_f32 v55, v43, v27, -v41
	v_fmac_f32_e32 v56, v44, v27
	ds_read2_b64 v[41:44], v0 offset1:16
	v_mul_f32_e32 v59, v49, v26
	s_waitcnt vmcnt(7)
	v_mul_f32_e32 v49, v52, v30
	v_fma_f32 v60, v51, v29, -v49
	v_mul_f32_e32 v61, v51, v30
	s_waitcnt vmcnt(6) lgkmcnt(0)
	v_mul_f32_e32 v49, v42, v128
	v_fmac_f32_e32 v59, v50, v25
	v_fmac_f32_e32 v61, v52, v29
	v_fma_f32 v62, v41, v127, -v49
	ds_read2_b64 v[49:52], v156 offset0:192 offset1:208
	v_mul_f32_e32 v63, v41, v128
	s_waitcnt vmcnt(5)
	v_mul_f32_e32 v41, v44, v126
	v_fma_f32 v64, v43, v125, -v41
	v_mul_f32_e32 v65, v43, v126
	s_waitcnt lgkmcnt(0)
	v_mul_f32_e32 v41, v50, v32
	v_fmac_f32_e32 v63, v42, v127
	v_fmac_f32_e32 v65, v44, v125
	v_fma_f32 v66, v49, v31, -v41
	ds_read2_b64 v[41:44], v156 offset0:128 offset1:144
	v_mul_f32_e32 v67, v49, v32
	s_waitcnt vmcnt(4)
	v_mul_f32_e32 v49, v52, v36
	v_fma_f32 v68, v51, v35, -v49
	v_mul_f32_e32 v69, v51, v36
	s_waitcnt lgkmcnt(0)
	v_mul_f32_e32 v49, v42, v34
	v_fmac_f32_e32 v67, v50, v31
	v_fmac_f32_e32 v69, v52, v35
	v_fma_f32 v70, v41, v33, -v49
	ds_read2_b64 v[49:52], v156 offset0:224 offset1:240
	v_mul_f32_e32 v71, v41, v34
	s_waitcnt vmcnt(3)
	v_mul_f32_e32 v41, v44, v38
	v_fma_f32 v72, v43, v37, -v41
	v_mul_f32_e32 v135, v43, v38
	s_waitcnt vmcnt(2) lgkmcnt(0)
	v_mul_f32_e32 v41, v52, v134
	v_fmac_f32_e32 v71, v42, v33
	v_fmac_f32_e32 v135, v44, v37
	v_fma_f32 v136, v51, v133, -v41
	ds_read2_b64 v[41:44], v0 offset0:32 offset1:48
	v_mul_f32_e32 v137, v51, v134
	v_mul_f32_e32 v51, v50, v40
	v_fma_f32 v138, v49, v39, -v51
	v_mul_f32_e32 v139, v49, v40
	s_waitcnt vmcnt(1) lgkmcnt(0)
	v_mul_f32_e32 v49, v42, v132
	v_fmac_f32_e32 v137, v52, v133
	v_fmac_f32_e32 v139, v50, v39
	v_fma_f32 v140, v41, v131, -v49
	v_mul_f32_e32 v141, v41, v132
	ds_read2_b64 v[49:52], v156 offset1:16
	s_waitcnt vmcnt(0)
	v_mul_f32_e32 v41, v44, v130
	v_mul_f32_e32 v143, v43, v130
	v_fmac_f32_e32 v141, v42, v131
	v_fma_f32 v142, v43, v129, -v41
	v_fmac_f32_e32 v143, v44, v129
	ds_read2_b64 v[41:44], v156 offset0:64 offset1:80
	s_waitcnt lgkmcnt(1)
	v_sub_f32_e32 v53, v49, v53
	v_sub_f32_e32 v144, v51, v55
	v_fma_f32 v55, v49, 2.0, -v53
	v_sub_f32_e32 v54, v50, v54
	s_waitcnt lgkmcnt(0)
	v_mul_f32_e32 v49, v44, v22
	v_mul_f32_e32 v149, v43, v22
	v_fma_f32 v148, v43, v21, -v49
	v_fmac_f32_e32 v149, v44, v21
	v_sub_f32_e32 v136, v148, v136
	v_sub_f32_e32 v137, v149, v137
	;; [unrolled: 1-line block ×3, first 2 shown]
	v_add_f32_e32 v44, v54, v136
	v_sub_f32_e32 v145, v52, v56
	v_fma_f32 v56, v50, 2.0, -v54
	v_fma_f32 v53, v53, 2.0, -v43
	;; [unrolled: 1-line block ×5, first 2 shown]
	ds_read2_b64 v[49:52], v156 offset0:32 offset1:48
	s_waitcnt lgkmcnt(0)
	; wave barrier
	s_waitcnt lgkmcnt(0)
	ds_write_b64 v156, v[53:54] offset:320
	v_fma_f32 v53, v148, 2.0, -v136
	v_fma_f32 v54, v149, 2.0, -v137
	v_sub_f32_e32 v53, v55, v53
	v_sub_f32_e32 v54, v56, v54
	;; [unrolled: 1-line block ×4, first 2 shown]
	ds_write_b64 v156, v[53:54] offset:640
	ds_write_b64 v156, v[43:44] offset:960
	v_fma_f32 v43, v58, 2.0, -v62
	v_fma_f32 v44, v59, 2.0, -v63
	v_sub_f32_e32 v43, v146, v43
	v_sub_f32_e32 v44, v147, v44
	v_fma_f32 v55, v55, 2.0, -v53
	v_fma_f32 v56, v56, 2.0, -v54
	;; [unrolled: 1-line block ×4, first 2 shown]
	ds_write2_b64 v156, v[55:56], v[53:54] offset1:16
	v_sub_f32_e32 v53, v144, v63
	v_add_f32_e32 v54, v145, v62
	v_fma_f32 v55, v144, 2.0, -v53
	v_fma_f32 v56, v145, 2.0, -v54
	ds_write_b64 v156, v[55:56] offset:448
	ds_write_b64 v156, v[43:44] offset:768
	;; [unrolled: 1-line block ×3, first 2 shown]
	v_mov_b32_e32 v58, 0xa0
	v_sub_f32_e32 v55, v49, v66
	v_sub_f32_e32 v56, v50, v67
	v_sub_f32_e32 v54, v60, v64
	v_sub_f32_e32 v53, v61, v65
	v_fma_f32 v43, v60, 2.0, -v54
	v_fma_f32 v44, v61, 2.0, -v53
	;; [unrolled: 1-line block ×4, first 2 shown]
	v_cndmask_b32_e32 v45, 0, v58, vcc
	v_sub_f32_e32 v43, v49, v43
	v_sub_f32_e32 v44, v50, v44
	;; [unrolled: 1-line block ×3, first 2 shown]
	v_add_f32_e32 v54, v56, v54
	v_add_u32_e32 v45, v45, v57
	v_fma_f32 v49, v49, 2.0, -v43
	v_fma_f32 v50, v50, 2.0, -v44
	;; [unrolled: 1-line block ×4, first 2 shown]
	v_add_lshl_u32 v168, v48, v45, 3
	ds_write2_b64 v168, v[49:50], v[55:56] offset1:40
	ds_write2_b64 v168, v[43:44], v[53:54] offset0:80 offset1:120
	v_sub_f32_e32 v50, v51, v68
	v_sub_f32_e32 v53, v52, v69
	v_fma_f32 v43, v51, 2.0, -v50
	v_fma_f32 v44, v52, 2.0, -v53
	v_sub_f32_e32 v52, v41, v138
	v_sub_f32_e32 v54, v42, v139
	;; [unrolled: 1-line block ×6, first 2 shown]
	v_fma_f32 v48, v41, 2.0, -v52
	v_fma_f32 v49, v42, 2.0, -v54
	;; [unrolled: 1-line block ×6, first 2 shown]
	v_sub_f32_e32 v41, v43, v41
	v_sub_f32_e32 v42, v44, v42
	;; [unrolled: 1-line block ×4, first 2 shown]
	v_fma_f32 v43, v43, 2.0, -v41
	v_fma_f32 v44, v44, 2.0, -v42
	;; [unrolled: 1-line block ×4, first 2 shown]
	ds_write2_b64 v156, v[43:44], v[48:49] offset0:168 offset1:184
	v_sub_f32_e32 v43, v50, v55
	v_add_f32_e32 v44, v53, v51
	v_fma_f32 v48, v50, 2.0, -v43
	v_sub_f32_e32 v50, v52, v57
	v_add_f32_e32 v51, v54, v56
	v_fma_f32 v49, v53, 2.0, -v44
	v_fma_f32 v52, v52, 2.0, -v50
	;; [unrolled: 1-line block ×3, first 2 shown]
	ds_write2_b64 v156, v[48:49], v[52:53] offset0:208 offset1:224
	ds_write2_b64 v169, v[41:42], v[45:46] offset0:120 offset1:136
	;; [unrolled: 1-line block ×3, first 2 shown]
	s_waitcnt lgkmcnt(0)
	; wave barrier
	s_waitcnt lgkmcnt(0)
	global_load_dwordx2 v[141:142], v47, s[10:11] offset:1200
	global_load_dwordx2 v[139:140], v47, s[10:11] offset:1328
	;; [unrolled: 1-line block ×10, first 2 shown]
	ds_read2_b64 v[41:44], v156 offset0:160 offset1:176
	ds_read2_b64 v[48:51], v156 offset0:192 offset1:208
	s_waitcnt vmcnt(9) lgkmcnt(1)
	v_mul_f32_e32 v45, v42, v142
	v_fma_f32 v45, v41, v141, -v45
	v_mul_f32_e32 v46, v41, v142
	s_waitcnt vmcnt(8)
	v_mul_f32_e32 v41, v44, v140
	v_fma_f32 v52, v43, v139, -v41
	v_mul_f32_e32 v53, v43, v140
	s_waitcnt vmcnt(7) lgkmcnt(0)
	v_mul_f32_e32 v41, v49, v138
	v_fmac_f32_e32 v46, v42, v141
	v_fmac_f32_e32 v53, v44, v139
	v_fma_f32 v58, v48, v137, -v41
	ds_read2_b64 v[41:44], v156 offset0:224 offset1:240
	v_mul_f32_e32 v59, v48, v138
	s_waitcnt vmcnt(6)
	v_mul_f32_e32 v48, v51, v136
	v_fma_f32 v60, v50, v135, -v48
	v_mul_f32_e32 v61, v50, v136
	s_waitcnt vmcnt(5) lgkmcnt(0)
	v_mul_f32_e32 v48, v42, v150
	v_fmac_f32_e32 v59, v49, v137
	v_fmac_f32_e32 v61, v51, v135
	v_fma_f32 v66, v41, v149, -v48
	ds_read2_b64 v[48:51], v0 offset1:16
	v_mul_f32_e32 v67, v41, v150
	s_waitcnt vmcnt(4)
	v_mul_f32_e32 v41, v44, v148
	v_fma_f32 v68, v43, v147, -v41
	v_mul_f32_e32 v69, v43, v148
	s_waitcnt vmcnt(3) lgkmcnt(0)
	v_mul_f32_e32 v41, v49, v146
	v_fmac_f32_e32 v67, v42, v149
	v_fmac_f32_e32 v69, v44, v147
	v_fma_f32 v72, v48, v145, -v41
	ds_read2_b64 v[41:44], v0 offset0:32 offset1:48
	v_mul_f32_e32 v166, v48, v146
	s_waitcnt vmcnt(2)
	v_mul_f32_e32 v48, v51, v144
	v_fma_f32 v174, v50, v143, -v48
	v_mul_f32_e32 v175, v50, v144
	s_waitcnt vmcnt(1) lgkmcnt(0)
	v_mul_f32_e32 v48, v42, v154
	v_fmac_f32_e32 v166, v49, v145
	v_fmac_f32_e32 v175, v51, v143
	v_fma_f32 v176, v41, v153, -v48
	ds_read2_b64 v[48:51], v156 offset1:16
	v_mul_f32_e32 v177, v41, v154
	s_waitcnt vmcnt(0)
	v_mul_f32_e32 v41, v44, v152
	v_mul_f32_e32 v179, v43, v152
	v_fmac_f32_e32 v177, v42, v153
	v_fma_f32 v178, v43, v151, -v41
	v_fmac_f32_e32 v179, v44, v151
	s_waitcnt lgkmcnt(0)
	v_sub_f32_e32 v45, v48, v45
	v_sub_f32_e32 v46, v49, v46
	;; [unrolled: 1-line block ×4, first 2 shown]
	ds_read2_b64 v[41:44], v156 offset0:32 offset1:48
	v_fma_f32 v54, v48, 2.0, -v45
	v_fma_f32 v55, v49, 2.0, -v46
	;; [unrolled: 1-line block ×4, first 2 shown]
	ds_read2_b64 v[48:51], v156 offset0:64 offset1:80
	s_waitcnt lgkmcnt(1)
	v_sub_f32_e32 v58, v41, v58
	v_sub_f32_e32 v59, v42, v59
	;; [unrolled: 1-line block ×4, first 2 shown]
	v_fma_f32 v62, v41, 2.0, -v58
	v_fma_f32 v63, v42, 2.0, -v59
	;; [unrolled: 1-line block ×4, first 2 shown]
	s_waitcnt lgkmcnt(0)
	v_sub_f32_e32 v66, v48, v66
	v_sub_f32_e32 v67, v49, v67
	;; [unrolled: 1-line block ×4, first 2 shown]
	ds_read2_b64 v[41:44], v156 offset0:96 offset1:112
	v_fma_f32 v70, v48, 2.0, -v66
	v_fma_f32 v71, v49, 2.0, -v67
	;; [unrolled: 1-line block ×4, first 2 shown]
	ds_read2_b64 v[48:51], v156 offset0:128 offset1:144
	s_waitcnt lgkmcnt(1)
	v_sub_f32_e32 v172, v41, v72
	v_sub_f32_e32 v173, v42, v166
	;; [unrolled: 1-line block ×4, first 2 shown]
	v_fma_f32 v41, v41, 2.0, -v172
	v_fma_f32 v42, v42, 2.0, -v173
	s_waitcnt lgkmcnt(0)
	v_sub_f32_e32 v176, v48, v176
	v_sub_f32_e32 v177, v49, v177
	;; [unrolled: 1-line block ×4, first 2 shown]
	v_add_u32_e32 v166, 0x400, v155
	v_fma_f32 v43, v43, 2.0, -v174
	v_fma_f32 v44, v44, 2.0, -v175
	;; [unrolled: 1-line block ×6, first 2 shown]
	ds_write_b64 v156, v[54:55]
	ds_write_b64 v155, v[45:46] offset:1280
	ds_write_b64 v156, v[56:57] offset:128
	;; [unrolled: 1-line block ×6, first 2 shown]
	ds_write2_b64 v155, v[60:61], v[66:67] offset0:208 offset1:224
	ds_write2_b64 v155, v[70:71], v[170:171] offset0:64 offset1:80
	;; [unrolled: 1-line block ×6, first 2 shown]
	ds_write_b64 v155, v[178:179] offset:2432
	s_waitcnt lgkmcnt(0)
	; wave barrier
	s_waitcnt lgkmcnt(0)
	global_load_dwordx2 v[41:42], v47, s[8:9] offset:2560
	global_load_dwordx2 v[45:46], v47, s[6:7] offset:512
	global_load_dwordx2 v[52:53], v47, s[6:7] offset:768
	global_load_dwordx2 v[54:55], v47, s[6:7] offset:1024
	global_load_dwordx2 v[56:57], v47, s[6:7] offset:1280
	global_load_dwordx2 v[58:59], v47, s[6:7] offset:256
	global_load_dwordx2 v[60:61], v47, s[6:7] offset:1536
	global_load_dwordx2 v[62:63], v47, s[6:7] offset:1792
	global_load_dwordx2 v[64:65], v47, s[6:7] offset:2048
	global_load_dwordx2 v[66:67], v47, s[6:7] offset:2304
	global_load_dwordx2 v[68:69], v47, s[6:7] offset:128
	global_load_dwordx2 v[70:71], v47, s[6:7] offset:384
	ds_read_b64 v[43:44], v156
	global_load_dwordx2 v[170:171], v47, s[6:7] offset:2432
	global_load_dwordx2 v[172:173], v47, s[6:7] offset:896
	;; [unrolled: 1-line block ×3, first 2 shown]
	ds_read_b64 v[174:175], v156 offset:256
	s_waitcnt vmcnt(14) lgkmcnt(1)
	v_mul_f32_e32 v48, v44, v42
	v_mul_f32_e32 v49, v43, v42
	v_fma_f32 v48, v43, v41, -v48
	v_fmac_f32_e32 v49, v44, v41
	ds_write_b64 v156, v[48:49]
	ds_read2_b64 v[41:44], v156 offset0:64 offset1:96
	global_load_dwordx2 v[178:179], v47, s[6:7] offset:1408
	global_load_dwordx2 v[180:181], v47, s[6:7] offset:1920
	;; [unrolled: 1-line block ×3, first 2 shown]
	s_waitcnt vmcnt(16) lgkmcnt(0)
	v_mul_f32_e32 v48, v42, v46
	v_fma_f32 v184, v41, v45, -v48
	ds_read2_b64 v[48:51], v156 offset0:128 offset1:160
	v_mul_f32_e32 v185, v41, v46
	v_fmac_f32_e32 v185, v42, v45
	s_waitcnt vmcnt(15)
	v_mul_f32_e32 v41, v44, v53
	v_mul_f32_e32 v42, v43, v53
	v_fma_f32 v41, v43, v52, -v41
	v_fmac_f32_e32 v42, v44, v52
	s_waitcnt vmcnt(14) lgkmcnt(0)
	v_mul_f32_e32 v43, v49, v55
	v_mul_f32_e32 v44, v48, v55
	s_waitcnt vmcnt(13)
	v_mul_f32_e32 v45, v51, v57
	v_mul_f32_e32 v46, v50, v57
	v_fma_f32 v43, v48, v54, -v43
	v_fmac_f32_e32 v44, v49, v54
	v_fma_f32 v45, v50, v56, -v45
	v_fmac_f32_e32 v46, v51, v56
	global_load_dwordx2 v[50:51], v47, s[6:7] offset:1664
	s_waitcnt vmcnt(13)
	v_mul_f32_e32 v48, v175, v59
	v_mul_f32_e32 v49, v174, v59
	v_fma_f32 v48, v174, v58, -v48
	v_fmac_f32_e32 v49, v175, v58
	ds_write2_b64 v156, v[184:185], v[41:42] offset0:64 offset1:96
	ds_write2_b64 v156, v[43:44], v[45:46] offset0:128 offset1:160
	ds_write_b64 v156, v[48:49] offset:256
	global_load_dwordx2 v[45:46], v47, s[6:7] offset:2176
	ds_read_b64 v[41:42], v155 offset:1536
	ds_read_b64 v[43:44], v155 offset:1792
	;; [unrolled: 1-line block ×4, first 2 shown]
	s_waitcnt vmcnt(13) lgkmcnt(3)
	v_mul_f32_e32 v49, v42, v61
	v_mul_f32_e32 v55, v41, v61
	v_fma_f32 v54, v41, v60, -v49
	v_fmac_f32_e32 v55, v42, v60
	s_waitcnt vmcnt(12) lgkmcnt(2)
	v_mul_f32_e32 v41, v44, v63
	v_mul_f32_e32 v42, v43, v63
	v_fma_f32 v41, v43, v62, -v41
	v_fmac_f32_e32 v42, v44, v62
	;; [unrolled: 5-line block ×4, first 2 shown]
	ds_write_b64 v155, v[54:55] offset:1536
	ds_write_b64 v155, v[41:42] offset:1792
	;; [unrolled: 1-line block ×4, first 2 shown]
	ds_read_b64 v[41:42], v156 offset:128
	ds_read_b64 v[43:44], v156 offset:384
	s_waitcnt vmcnt(9) lgkmcnt(1)
	v_mul_f32_e32 v47, v42, v69
	v_mul_f32_e32 v48, v41, v69
	v_fma_f32 v47, v41, v68, -v47
	v_fmac_f32_e32 v48, v42, v68
	s_waitcnt vmcnt(8) lgkmcnt(0)
	v_mul_f32_e32 v41, v44, v71
	v_mul_f32_e32 v42, v43, v71
	v_fma_f32 v41, v43, v70, -v41
	v_fmac_f32_e32 v42, v44, v70
	ds_write_b64 v156, v[47:48] offset:128
	ds_write_b64 v156, v[41:42] offset:384
	ds_read2_b64 v[41:44], v155 offset0:80 offset1:112
	s_waitcnt vmcnt(5) lgkmcnt(0)
	v_mul_f32_e32 v47, v42, v177
	v_mul_f32_e32 v48, v41, v177
	v_fma_f32 v47, v41, v176, -v47
	v_fmac_f32_e32 v48, v42, v176
	ds_read_b64 v[41:42], v155 offset:1152
	v_mul_f32_e32 v49, v44, v173
	v_mul_f32_e32 v53, v43, v173
	v_fma_f32 v52, v43, v172, -v49
	v_fmac_f32_e32 v53, v44, v172
	ds_write2_b64 v155, v[47:48], v[52:53] offset0:80 offset1:112
	s_waitcnt vmcnt(2) lgkmcnt(1)
	v_mul_f32_e32 v43, v42, v183
	v_mul_f32_e32 v44, v41, v183
	v_fma_f32 v43, v41, v182, -v43
	v_fmac_f32_e32 v44, v42, v182
	ds_write_b64 v155, v[43:44] offset:1152
	ds_read_b64 v[41:42], v156 offset:1408
	s_waitcnt lgkmcnt(0)
	v_mul_f32_e32 v43, v42, v179
	v_mul_f32_e32 v44, v41, v179
	v_fma_f32 v43, v41, v178, -v43
	v_fmac_f32_e32 v44, v42, v178
	ds_write_b64 v156, v[43:44] offset:1408
	ds_read_b64 v[41:42], v155 offset:1664
	ds_read_b64 v[43:44], v155 offset:1920
	;; [unrolled: 1-line block ×4, first 2 shown]
	s_waitcnt vmcnt(1) lgkmcnt(3)
	v_mul_f32_e32 v49, v42, v51
	v_mul_f32_e32 v55, v41, v51
	v_fma_f32 v54, v41, v50, -v49
	v_fmac_f32_e32 v55, v42, v50
	s_waitcnt lgkmcnt(2)
	v_mul_f32_e32 v41, v44, v181
	v_mul_f32_e32 v42, v43, v181
	v_fma_f32 v41, v43, v180, -v41
	v_fmac_f32_e32 v42, v44, v180
	s_waitcnt vmcnt(0) lgkmcnt(1)
	v_mul_f32_e32 v43, v48, v46
	v_mul_f32_e32 v44, v47, v46
	v_fma_f32 v43, v47, v45, -v43
	v_fmac_f32_e32 v44, v48, v45
	s_waitcnt lgkmcnt(0)
	v_mul_f32_e32 v45, v53, v171
	v_mul_f32_e32 v46, v52, v171
	v_fma_f32 v45, v52, v170, -v45
	v_fmac_f32_e32 v46, v53, v170
	ds_write_b64 v155, v[54:55] offset:1664
	ds_write_b64 v155, v[41:42] offset:1920
	;; [unrolled: 1-line block ×4, first 2 shown]
	s_waitcnt lgkmcnt(0)
	; wave barrier
	s_waitcnt lgkmcnt(0)
	ds_read2_b64 v[57:60], v156 offset0:64 offset1:96
	ds_read2_b64 v[69:72], v156 offset0:128 offset1:160
	;; [unrolled: 1-line block ×7, first 2 shown]
	s_waitcnt lgkmcnt(5)
	v_sub_f32_e32 v49, v57, v69
	s_waitcnt lgkmcnt(4)
	v_sub_f32_e32 v203, v69, v47
	;; [unrolled: 2-line block ×3, first 2 shown]
	v_add_f32_e32 v170, v49, v50
	v_sub_f32_e32 v49, v58, v70
	v_sub_f32_e32 v50, v44, v48
	v_add_f32_e32 v183, v49, v50
	v_sub_f32_e32 v49, v59, v71
	s_waitcnt lgkmcnt(1)
	v_sub_f32_e32 v50, v63, v67
	v_add_f32_e32 v184, v49, v50
	v_sub_f32_e32 v49, v60, v72
	v_sub_f32_e32 v50, v64, v68
	v_add_f32_e32 v185, v49, v50
	v_add_f32_e32 v49, v71, v67
	s_waitcnt lgkmcnt(0)
	v_fma_f32 v186, -0.5, v49, v53
	v_add_f32_e32 v49, v72, v68
	v_fma_f32 v189, -0.5, v49, v54
	v_sub_f32_e32 v190, v59, v63
	v_mov_b32_e32 v172, v189
	ds_read2_b64 v[49:52], v156 offset1:16
	v_sub_f32_e32 v187, v60, v64
	v_mov_b32_e32 v171, v186
	v_fmac_f32_e32 v172, 0x3f737871, v190
	v_sub_f32_e32 v191, v71, v67
	v_fmac_f32_e32 v171, 0xbf737871, v187
	v_sub_f32_e32 v188, v72, v68
	v_fmac_f32_e32 v172, 0x3f167918, v191
	v_fmac_f32_e32 v171, 0xbf167918, v188
	;; [unrolled: 1-line block ×4, first 2 shown]
	v_mul_f32_e32 v192, 0xbf167918, v172
	v_fmac_f32_e32 v192, 0x3f4f1bbd, v171
	v_mul_f32_e32 v193, 0x3f167918, v171
	s_waitcnt lgkmcnt(0)
	v_add_f32_e32 v171, v49, v57
	v_add_f32_e32 v171, v171, v69
	;; [unrolled: 1-line block ×5, first 2 shown]
	v_fma_f32 v195, -0.5, v171, v49
	v_add_f32_e32 v171, v50, v58
	v_sub_f32_e32 v201, v57, v43
	v_sub_f32_e32 v69, v69, v57
	v_add_f32_e32 v57, v57, v43
	v_add_f32_e32 v171, v171, v70
	v_sub_f32_e32 v43, v47, v43
	v_fma_f32 v57, -0.5, v57, v49
	v_sub_f32_e32 v198, v70, v48
	v_add_f32_e32 v171, v171, v48
	v_add_f32_e32 v43, v69, v43
	v_mov_b32_e32 v69, v57
	v_sub_f32_e32 v196, v58, v44
	v_add_f32_e32 v199, v171, v44
	v_add_f32_e32 v171, v70, v48
	v_fmac_f32_e32 v69, 0x3f737871, v198
	v_fmac_f32_e32 v57, 0xbf737871, v198
	v_fma_f32 v200, -0.5, v171, v50
	v_add_f32_e32 v171, v53, v59
	v_sub_f32_e32 v70, v70, v58
	v_add_f32_e32 v58, v58, v44
	v_fmac_f32_e32 v69, 0xbf167918, v196
	v_fmac_f32_e32 v57, 0x3f167918, v196
	v_add_f32_e32 v171, v171, v71
	v_fmac_f32_e32 v69, 0x3e9e377a, v43
	v_fmac_f32_e32 v57, 0x3e9e377a, v43
	v_sub_f32_e32 v43, v48, v44
	v_fma_f32 v44, -0.5, v58, v50
	v_add_f32_e32 v171, v171, v67
	v_sub_f32_e32 v71, v71, v59
	v_add_f32_e32 v59, v59, v63
	v_mov_b32_e32 v58, v44
	v_add_f32_e32 v204, v171, v63
	v_add_f32_e32 v171, v54, v60
	v_fmac_f32_e32 v58, 0xbf737871, v203
	v_fmac_f32_e32 v44, 0x3f737871, v203
	v_fma_f32 v47, -0.5, v59, v53
	v_add_f32_e32 v171, v171, v72
	v_sub_f32_e32 v72, v72, v60
	v_add_f32_e32 v60, v60, v64
	v_add_f32_e32 v43, v70, v43
	v_fmac_f32_e32 v58, 0x3f167918, v201
	v_fmac_f32_e32 v44, 0xbf167918, v201
	v_mov_b32_e32 v48, v47
	v_fmac_f32_e32 v58, 0x3e9e377a, v43
	v_fmac_f32_e32 v44, 0x3e9e377a, v43
	v_sub_f32_e32 v43, v67, v63
	v_fmac_f32_e32 v48, 0x3f737871, v188
	v_fmac_f32_e32 v47, 0xbf737871, v188
	v_fma_f32 v49, -0.5, v60, v54
	v_add_f32_e32 v43, v71, v43
	v_fmac_f32_e32 v48, 0xbf167918, v187
	v_fmac_f32_e32 v47, 0x3f167918, v187
	v_mov_b32_e32 v50, v49
	v_fmac_f32_e32 v48, 0x3e9e377a, v43
	v_fmac_f32_e32 v47, 0x3e9e377a, v43
	v_sub_f32_e32 v43, v68, v64
	v_fmac_f32_e32 v50, 0xbf737871, v191
	v_fmac_f32_e32 v49, 0x3f737871, v191
	v_add_f32_e32 v43, v72, v43
	v_fmac_f32_e32 v50, 0x3f167918, v190
	v_fmac_f32_e32 v49, 0xbf167918, v190
	;; [unrolled: 1-line block ×3, first 2 shown]
	ds_read_b64 v[179:180], v156 offset:1408
	ds_read_b64 v[181:182], v155 offset:2432
	ds_read2_b64 v[175:178], v155 offset0:80 offset1:112
	v_fmac_f32_e32 v50, 0x3e9e377a, v43
	v_fmac_f32_e32 v49, 0x3e9e377a, v43
	;; [unrolled: 1-line block ×4, first 2 shown]
	v_mov_b32_e32 v197, v195
	v_mov_b32_e32 v202, v200
	v_mul_f32_e32 v43, 0xbf737871, v50
	v_mul_f32_e32 v53, 0x3e9e377a, v50
	;; [unrolled: 1-line block ×4, first 2 shown]
	v_fmac_f32_e32 v195, 0x3f737871, v196
	v_fmac_f32_e32 v200, 0xbf737871, v201
	;; [unrolled: 1-line block ×6, first 2 shown]
	v_add_f32_e32 v171, v171, v68
	v_fmac_f32_e32 v43, 0x3e9e377a, v48
	v_fmac_f32_e32 v53, 0x3f737871, v48
	;; [unrolled: 1-line block ×7, first 2 shown]
	v_mul_f32_e32 v60, 0xbf167918, v189
	v_mul_f32_e32 v63, 0xbf4f1bbd, v189
	v_fmac_f32_e32 v197, 0xbf167918, v198
	v_fmac_f32_e32 v202, 0x3f167918, v203
	v_add_f32_e32 v205, v171, v64
	v_add_f32_e32 v47, v69, v43
	;; [unrolled: 1-line block ×5, first 2 shown]
	v_fmac_f32_e32 v195, 0x3e9e377a, v170
	v_fmac_f32_e32 v200, 0x3e9e377a, v183
	;; [unrolled: 1-line block ×7, first 2 shown]
	s_waitcnt lgkmcnt(0)
	; wave barrier
	s_waitcnt lgkmcnt(0)
	ds_write_b128 v163, v[47:50] offset:16
	v_sub_f32_e32 v49, v194, v204
	v_sub_f32_e32 v50, v199, v205
	v_add_f32_e32 v47, v195, v60
	v_add_f32_e32 v48, v200, v63
	ds_write_b128 v163, v[47:50] offset:32
	v_sub_f32_e32 v47, v197, v192
	v_sub_f32_e32 v49, v69, v43
	;; [unrolled: 1-line block ×4, first 2 shown]
	v_add_f32_e32 v43, v51, v175
	ds_write_b128 v163, v[47:50] offset:48
	v_sub_f32_e32 v47, v57, v54
	v_sub_f32_e32 v49, v195, v60
	;; [unrolled: 1-line block ×4, first 2 shown]
	v_add_f32_e32 v43, v43, v45
	v_add_f32_e32 v44, v52, v176
	;; [unrolled: 1-line block ×6, first 2 shown]
	ds_write_b128 v163, v[47:50] offset:64
	v_add_f32_e32 v43, v43, v65
	v_add_f32_e32 v44, v44, v46
	;; [unrolled: 1-line block ×3, first 2 shown]
	v_sub_f32_e32 v49, v61, v65
	v_sub_f32_e32 v50, v65, v61
	;; [unrolled: 1-line block ×3, first 2 shown]
	v_add_f32_e32 v65, v55, v177
	ds_write_b128 v163, v[171:174]
	v_add_f32_e32 v44, v44, v66
	v_add_f32_e32 v70, v56, v178
	;; [unrolled: 1-line block ×5, first 2 shown]
	v_sub_f32_e32 v48, v46, v66
	v_add_f32_e32 v53, v46, v66
	v_sub_f32_e32 v57, v62, v66
	v_sub_f32_e32 v58, v66, v62
	v_add_f32_e32 v59, v43, v61
	v_add_f32_e32 v60, v44, v62
	v_sub_f32_e32 v63, v176, v62
	v_add_f32_e32 v64, v175, v61
	v_sub_f32_e32 v61, v175, v61
	;; [unrolled: 2-line block ×3, first 2 shown]
	v_sub_f32_e32 v45, v45, v175
	v_sub_f32_e32 v44, v176, v46
	;; [unrolled: 1-line block ×4, first 2 shown]
	v_add_f32_e32 v70, v70, v180
	v_sub_f32_e32 v174, v179, v41
	v_add_f32_e32 v65, v65, v41
	v_sub_f32_e32 v175, v181, v41
	v_sub_f32_e32 v176, v41, v181
	;; [unrolled: 1-line block ×3, first 2 shown]
	v_fma_f32 v171, -0.5, v171, v55
	v_fma_f32 v173, -0.5, v173, v56
	v_sub_f32_e32 v66, v178, v182
	v_sub_f32_e32 v67, v177, v179
	v_add_f32_e32 v68, v177, v181
	v_sub_f32_e32 v69, v179, v177
	v_sub_f32_e32 v71, v177, v181
	;; [unrolled: 1-line block ×3, first 2 shown]
	v_add_f32_e32 v70, v70, v42
	v_sub_f32_e32 v177, v42, v182
	v_add_f32_e32 v72, v72, v41
	v_mov_b32_e32 v41, v171
	v_mov_b32_e32 v42, v173
	v_fmac_f32_e32 v41, 0xbf737871, v66
	v_fmac_f32_e32 v42, 0x3f737871, v71
	v_fma_f32 v47, -0.5, v47, v51
	v_fma_f32 v53, -0.5, v53, v52
	v_sub_f32_e32 v170, v180, v178
	v_add_f32_e32 v67, v67, v175
	v_fmac_f32_e32 v41, 0xbf167918, v172
	v_fmac_f32_e32 v42, 0x3f167918, v174
	v_mov_b32_e32 v179, v47
	v_mov_b32_e32 v180, v53
	v_fmac_f32_e32 v41, 0x3e9e377a, v67
	v_fmac_f32_e32 v42, 0x3e9e377a, v72
	;; [unrolled: 1-line block ×4, first 2 shown]
	v_add_f32_e32 v163, v178, v182
	v_add_f32_e32 v49, v43, v49
	;; [unrolled: 1-line block ×3, first 2 shown]
	v_mul_f32_e32 v175, 0xbf167918, v42
	v_mul_f32_e32 v178, 0x3f167918, v41
	v_fmac_f32_e32 v179, 0xbf167918, v48
	v_fmac_f32_e32 v180, 0x3f167918, v54
	v_add_f32_e32 v65, v65, v181
	v_add_f32_e32 v70, v70, v182
	v_fmac_f32_e32 v175, 0x3f4f1bbd, v41
	v_fmac_f32_e32 v178, 0x3f4f1bbd, v42
	;; [unrolled: 1-line block ×4, first 2 shown]
	v_add_f32_e32 v41, v59, v65
	v_add_f32_e32 v43, v179, v175
	v_add_f32_e32 v42, v60, v70
	v_add_f32_e32 v44, v180, v178
	ds_write_b128 v160, v[41:44]
	v_add_f32_e32 v44, v45, v50
	v_fma_f32 v45, -0.5, v64, v51
	v_mov_b32_e32 v50, v45
	v_fmac_f32_e32 v50, 0x3f737871, v48
	v_fmac_f32_e32 v45, 0xbf737871, v48
	v_fmac_f32_e32 v56, -0.5, v163
	v_fmac_f32_e32 v50, 0xbf167918, v63
	v_fmac_f32_e32 v45, 0x3f167918, v63
	v_fmac_f32_e32 v52, -0.5, v62
	v_fma_f32 v42, -0.5, v68, v55
	v_mov_b32_e32 v43, v56
	v_fmac_f32_e32 v50, 0x3e9e377a, v44
	v_fmac_f32_e32 v45, 0x3e9e377a, v44
	v_add_f32_e32 v44, v46, v58
	v_mov_b32_e32 v46, v52
	v_fmac_f32_e32 v56, 0x3f737871, v174
	v_fmac_f32_e32 v46, 0xbf737871, v54
	v_fmac_f32_e32 v52, 0x3f737871, v54
	v_mov_b32_e32 v51, v42
	v_fmac_f32_e32 v43, 0xbf737871, v174
	v_add_f32_e32 v41, v170, v177
	v_fmac_f32_e32 v56, 0xbf167918, v71
	v_fmac_f32_e32 v46, 0x3f167918, v61
	;; [unrolled: 1-line block ×10, first 2 shown]
	v_add_f32_e32 v44, v69, v176
	v_fmac_f32_e32 v51, 0xbf167918, v66
	v_fmac_f32_e32 v42, 0x3f167918, v66
	;; [unrolled: 1-line block ×6, first 2 shown]
	v_mul_f32_e32 v55, 0xbf737871, v56
	v_mul_f32_e32 v56, 0xbe9e377a, v56
	v_fmac_f32_e32 v51, 0x3e9e377a, v44
	v_fmac_f32_e32 v42, 0x3e9e377a, v44
	v_mul_f32_e32 v58, 0xbf737871, v43
	v_mul_f32_e32 v62, 0x3e9e377a, v43
	v_fmac_f32_e32 v47, 0x3f167918, v48
	v_fmac_f32_e32 v53, 0xbf737871, v61
	;; [unrolled: 1-line block ×11, first 2 shown]
	v_mul_f32_e32 v48, 0xbf167918, v173
	v_mul_f32_e32 v49, 0xbf4f1bbd, v173
	v_add_f32_e32 v41, v50, v58
	v_add_f32_e32 v43, v45, v55
	;; [unrolled: 1-line block ×4, first 2 shown]
	v_fmac_f32_e32 v53, 0x3e9e377a, v57
	v_fmac_f32_e32 v48, 0xbf4f1bbd, v171
	;; [unrolled: 1-line block ×3, first 2 shown]
	ds_write_b128 v160, v[41:44] offset:16
	v_sub_f32_e32 v43, v59, v65
	v_sub_f32_e32 v44, v60, v70
	v_add_f32_e32 v41, v47, v48
	v_add_f32_e32 v42, v53, v49
	ds_write_b128 v160, v[41:44] offset:32
	v_sub_f32_e32 v41, v179, v175
	v_sub_f32_e32 v43, v50, v58
	;; [unrolled: 1-line block ×4, first 2 shown]
	ds_write_b128 v160, v[41:44] offset:48
	v_sub_f32_e32 v42, v52, v56
	v_sub_f32_e32 v41, v45, v55
	;; [unrolled: 1-line block ×4, first 2 shown]
	ds_write_b128 v160, v[41:44] offset:64
	s_waitcnt lgkmcnt(0)
	; wave barrier
	s_waitcnt lgkmcnt(0)
	ds_read2_b64 v[41:44], v0 offset1:16
	ds_read2_b64 v[45:48], v0 offset0:32 offset1:48
	s_waitcnt lgkmcnt(1)
	v_mul_f32_e32 v49, v120, v42
	v_fmac_f32_e32 v49, v119, v41
	v_mul_f32_e32 v41, v120, v41
	v_fma_f32 v50, v119, v42, -v41
	v_mul_f32_e32 v41, v116, v43
	v_mul_f32_e32 v51, v116, v44
	v_fma_f32 v52, v115, v44, -v41
	s_waitcnt lgkmcnt(0)
	v_mul_f32_e32 v41, v124, v45
	v_fmac_f32_e32 v51, v115, v43
	v_fma_f32 v54, v123, v46, -v41
	ds_read2_b64 v[41:44], v156 offset0:224 offset1:240
	v_mul_f32_e32 v53, v124, v46
	v_fmac_f32_e32 v53, v123, v45
	v_mul_f32_e32 v55, v122, v48
	v_mul_f32_e32 v45, v122, v47
	v_fmac_f32_e32 v55, v121, v47
	v_fma_f32 v47, v121, v48, -v45
	s_waitcnt lgkmcnt(0)
	v_mul_f32_e32 v48, v118, v44
	v_fmac_f32_e32 v48, v117, v43
	v_mul_f32_e32 v43, v118, v43
	v_fma_f32 v56, v117, v44, -v43
	ds_read2_b64 v[43:46], v156 offset0:128 offset1:144
	v_mul_f32_e32 v57, v20, v42
	v_mul_f32_e32 v20, v20, v41
	v_fmac_f32_e32 v57, v19, v41
	v_fma_f32 v41, v19, v42, -v20
	s_waitcnt lgkmcnt(0)
	v_mul_f32_e32 v42, v18, v46
	v_mul_f32_e32 v18, v18, v45
	v_fmac_f32_e32 v42, v17, v45
	v_fma_f32 v45, v17, v46, -v18
	ds_read2_b64 v[17:20], v156 offset0:192 offset1:208
	v_mul_f32_e32 v46, v14, v44
	v_mul_f32_e32 v14, v14, v43
	v_fmac_f32_e32 v46, v13, v43
	v_fma_f32 v43, v13, v44, -v14
	s_waitcnt lgkmcnt(0)
	v_mul_f32_e32 v44, v16, v20
	v_mul_f32_e32 v13, v16, v19
	v_fmac_f32_e32 v44, v15, v19
	;; [unrolled: 10-line block ×4, first 2 shown]
	v_fma_f32 v62, v7, v12, -v5
	ds_read2_b64 v[5:8], v156 offset0:64 offset1:80
	v_mul_f32_e32 v13, v4, v10
	v_mul_f32_e32 v4, v4, v9
	v_fmac_f32_e32 v13, v3, v9
	v_fma_f32 v3, v3, v10, -v4
	ds_read2_b64 v[9:12], v156 offset1:16
	s_waitcnt lgkmcnt(1)
	v_mul_f32_e32 v4, v2, v8
	v_mul_f32_e32 v2, v2, v7
	v_fmac_f32_e32 v4, v1, v7
	v_fma_f32 v1, v1, v8, -v2
	s_waitcnt lgkmcnt(0)
	v_sub_f32_e32 v2, v9, v13
	v_sub_f32_e32 v3, v10, v3
	;; [unrolled: 1-line block ×4, first 2 shown]
	v_fma_f32 v4, v4, 2.0, -v14
	v_fma_f32 v1, v1, 2.0, -v13
	;; [unrolled: 1-line block ×4, first 2 shown]
	v_sub_f32_e32 v7, v9, v4
	v_sub_f32_e32 v8, v10, v1
	v_add_f32_e32 v13, v2, v13
	v_sub_f32_e32 v14, v3, v14
	v_fma_f32 v9, v9, 2.0, -v7
	v_fma_f32 v10, v10, 2.0, -v8
	;; [unrolled: 1-line block ×4, first 2 shown]
	ds_read2_b64 v[1:4], v156 offset0:32 offset1:48
	s_waitcnt lgkmcnt(0)
	; wave barrier
	s_waitcnt lgkmcnt(0)
	ds_write2_b64 v161, v[9:10], v[15:16] offset1:10
	ds_write2_b64 v161, v[7:8], v[13:14] offset0:20 offset1:30
	v_sub_f32_e32 v13, v11, v61
	v_sub_f32_e32 v14, v12, v62
	v_fma_f32 v9, v11, 2.0, -v13
	v_fma_f32 v10, v12, 2.0, -v14
	v_sub_f32_e32 v12, v59, v49
	v_sub_f32_e32 v11, v60, v50
	v_fma_f32 v7, v59, 2.0, -v12
	v_fma_f32 v8, v60, 2.0, -v11
	v_sub_f32_e32 v7, v9, v7
	v_sub_f32_e32 v8, v10, v8
	v_add_f32_e32 v11, v13, v11
	v_sub_f32_e32 v12, v14, v12
	v_fma_f32 v9, v9, 2.0, -v7
	v_fma_f32 v10, v10, 2.0, -v8
	;; [unrolled: 1-line block ×4, first 2 shown]
	ds_write2_b64 v162, v[9:10], v[13:14] offset1:10
	ds_write2_b64 v162, v[7:8], v[11:12] offset0:20 offset1:30
	v_sub_f32_e32 v11, v1, v20
	v_sub_f32_e32 v12, v2, v17
	;; [unrolled: 1-line block ×4, first 2 shown]
	v_fma_f32 v7, v18, 2.0, -v10
	v_fma_f32 v8, v58, 2.0, -v9
	;; [unrolled: 1-line block ×4, first 2 shown]
	v_sub_f32_e32 v1, v13, v7
	v_sub_f32_e32 v2, v14, v8
	v_add_f32_e32 v9, v11, v9
	v_sub_f32_e32 v10, v12, v10
	v_fma_f32 v7, v13, 2.0, -v1
	v_fma_f32 v8, v14, 2.0, -v2
	;; [unrolled: 1-line block ×4, first 2 shown]
	ds_write2_b64 v167, v[7:8], v[11:12] offset1:10
	ds_write2_b64 v167, v[1:2], v[9:10] offset0:20 offset1:30
	v_sub_f32_e32 v9, v3, v44
	v_sub_f32_e32 v10, v4, v19
	;; [unrolled: 1-line block ×8, first 2 shown]
	v_fma_f32 v3, v3, 2.0, -v9
	v_fma_f32 v4, v4, 2.0, -v10
	;; [unrolled: 1-line block ×8, first 2 shown]
	v_sub_f32_e32 v1, v3, v1
	v_sub_f32_e32 v2, v4, v2
	v_add_f32_e32 v7, v9, v7
	v_sub_f32_e32 v8, v10, v8
	v_sub_f32_e32 v5, v11, v5
	;; [unrolled: 1-line block ×3, first 2 shown]
	v_add_f32_e32 v13, v15, v13
	v_sub_f32_e32 v14, v16, v14
	v_fma_f32 v3, v3, 2.0, -v1
	v_fma_f32 v4, v4, 2.0, -v2
	;; [unrolled: 1-line block ×8, first 2 shown]
	ds_write2_b64 v164, v[3:4], v[9:10] offset1:10
	ds_write2_b64 v164, v[1:2], v[7:8] offset0:20 offset1:30
	ds_write2_b64 v165, v[11:12], v[15:16] offset1:10
	ds_write2_b64 v165, v[5:6], v[13:14] offset0:20 offset1:30
	s_waitcnt lgkmcnt(0)
	; wave barrier
	s_waitcnt lgkmcnt(0)
	ds_read2_b64 v[1:4], v156 offset0:160 offset1:176
	ds_read2_b64 v[5:8], v156 offset1:16
	ds_read2_b64 v[9:12], v156 offset0:96 offset1:112
	ds_read2_b64 v[13:16], v156 offset0:192 offset1:208
	s_waitcnt lgkmcnt(3)
	v_mul_f32_e32 v17, v24, v2
	v_fmac_f32_e32 v17, v23, v1
	v_mul_f32_e32 v1, v24, v1
	v_fma_f32 v18, v23, v2, -v1
	v_mul_f32_e32 v1, v28, v3
	v_mul_f32_e32 v20, v28, v4
	v_fma_f32 v23, v27, v4, -v1
	s_waitcnt lgkmcnt(1)
	v_mul_f32_e32 v1, v26, v9
	v_mul_f32_e32 v19, v26, v10
	v_fmac_f32_e32 v20, v27, v3
	v_fma_f32 v24, v25, v10, -v1
	ds_read2_b64 v[1:4], v156 offset0:128 offset1:144
	v_fmac_f32_e32 v19, v25, v9
	v_mul_f32_e32 v9, v30, v11
	s_waitcnt lgkmcnt(1)
	v_mul_f32_e32 v27, v32, v14
	v_mul_f32_e32 v25, v30, v12
	v_fma_f32 v26, v29, v12, -v9
	v_fmac_f32_e32 v27, v31, v13
	v_mul_f32_e32 v9, v32, v13
	v_mul_f32_e32 v30, v36, v16
	;; [unrolled: 1-line block ×3, first 2 shown]
	v_fma_f32 v28, v31, v14, -v9
	v_fmac_f32_e32 v30, v35, v15
	v_fma_f32 v31, v35, v16, -v13
	ds_read2_b64 v[13:16], v156 offset0:224 offset1:240
	v_fmac_f32_e32 v25, v29, v11
	s_waitcnt lgkmcnt(1)
	v_mul_f32_e32 v29, v34, v2
	v_fmac_f32_e32 v29, v33, v1
	v_mul_f32_e32 v1, v34, v1
	v_fma_f32 v32, v33, v2, -v1
	v_mul_f32_e32 v1, v38, v3
	v_mul_f32_e32 v35, v38, v4
	v_fma_f32 v36, v37, v4, -v1
	s_waitcnt lgkmcnt(0)
	v_mul_f32_e32 v1, v40, v13
	v_fmac_f32_e32 v35, v37, v3
	v_fma_f32 v38, v39, v14, -v1
	ds_read2_b64 v[1:4], v0 offset1:16
	v_mul_f32_e32 v37, v40, v14
	v_fmac_f32_e32 v37, v39, v13
	ds_read2_b64 v[9:12], v156 offset0:64 offset1:80
	v_mul_f32_e32 v33, v134, v16
	s_waitcnt lgkmcnt(1)
	v_mul_f32_e32 v39, v128, v2
	v_fmac_f32_e32 v39, v127, v1
	v_mul_f32_e32 v1, v128, v1
	v_fma_f32 v40, v127, v2, -v1
	v_mul_f32_e32 v41, v126, v4
	v_mul_f32_e32 v1, v126, v3
	v_fmac_f32_e32 v41, v125, v3
	v_fma_f32 v42, v125, v4, -v1
	ds_read2_b64 v[1:4], v0 offset0:32 offset1:48
	v_mul_f32_e32 v13, v134, v15
	v_fmac_f32_e32 v33, v133, v15
	v_fma_f32 v34, v133, v16, -v13
	ds_read2_b64 v[13:16], v156 offset0:32 offset1:48
	s_waitcnt lgkmcnt(2)
	v_mul_f32_e32 v43, v22, v12
	s_waitcnt lgkmcnt(1)
	v_mul_f32_e32 v44, v132, v2
	v_fmac_f32_e32 v43, v21, v11
	v_mul_f32_e32 v11, v22, v11
	v_fmac_f32_e32 v44, v131, v1
	v_mul_f32_e32 v1, v132, v1
	v_fma_f32 v11, v21, v12, -v11
	v_fma_f32 v45, v131, v2, -v1
	v_mul_f32_e32 v46, v130, v4
	v_mul_f32_e32 v1, v130, v3
	v_sub_f32_e32 v12, v5, v17
	v_sub_f32_e32 v17, v6, v18
	v_fmac_f32_e32 v46, v129, v3
	v_fma_f32 v47, v129, v4, -v1
	v_fma_f32 v3, v5, 2.0, -v12
	v_fma_f32 v4, v6, 2.0, -v17
	v_sub_f32_e32 v6, v43, v33
	v_sub_f32_e32 v5, v11, v34
	v_fma_f32 v1, v43, 2.0, -v6
	v_fma_f32 v2, v11, 2.0, -v5
	v_add_f32_e32 v5, v12, v5
	v_sub_f32_e32 v6, v17, v6
	v_sub_f32_e32 v21, v7, v20
	;; [unrolled: 1-line block ×5, first 2 shown]
	s_waitcnt lgkmcnt(0)
	v_sub_f32_e32 v27, v13, v27
	v_sub_f32_e32 v28, v14, v28
	;; [unrolled: 1-line block ×4, first 2 shown]
	v_fma_f32 v11, v12, 2.0, -v5
	v_fma_f32 v12, v17, 2.0, -v6
	;; [unrolled: 1-line block ×6, first 2 shown]
	v_add_f32_e32 v19, v21, v23
	v_fma_f32 v23, v13, 2.0, -v27
	v_fma_f32 v24, v14, 2.0, -v28
	;; [unrolled: 1-line block ×4, first 2 shown]
	v_add_f32_e32 v25, v27, v34
	v_sub_f32_e32 v26, v28, v33
	v_sub_f32_e32 v33, v15, v30
	;; [unrolled: 1-line block ×5, first 2 shown]
	v_fma_f32 v30, v15, 2.0, -v33
	v_fma_f32 v31, v16, 2.0, -v34
	v_fma_f32 v15, v29, 2.0, -v39
	v_fma_f32 v16, v32, 2.0, -v40
	v_sub_f32_e32 v15, v30, v15
	v_sub_f32_e32 v16, v31, v16
	v_fma_f32 v29, v30, 2.0, -v15
	v_fma_f32 v30, v31, 2.0, -v16
	v_add_f32_e32 v31, v33, v40
	v_sub_f32_e32 v32, v34, v39
	v_sub_f32_e32 v39, v9, v37
	;; [unrolled: 1-line block ×5, first 2 shown]
	v_fma_f32 v37, v9, 2.0, -v39
	v_fma_f32 v38, v10, 2.0, -v40
	;; [unrolled: 1-line block ×4, first 2 shown]
	v_sub_f32_e32 v9, v37, v9
	v_sub_f32_e32 v10, v38, v10
	;; [unrolled: 1-line block ×9, first 2 shown]
	v_fma_f32 v35, v37, 2.0, -v9
	v_fma_f32 v36, v38, 2.0, -v10
	v_add_f32_e32 v37, v39, v42
	v_sub_f32_e32 v38, v40, v41
	v_fma_f32 v3, v3, 2.0, -v1
	v_fma_f32 v4, v4, 2.0, -v2
	;; [unrolled: 1-line block ×14, first 2 shown]
	s_waitcnt lgkmcnt(0)
	; wave barrier
	ds_write_b64 v156, v[11:12] offset:320
	ds_write_b64 v156, v[1:2] offset:640
	;; [unrolled: 1-line block ×3, first 2 shown]
	ds_write2_b64 v156, v[3:4], v[17:18] offset1:16
	ds_write_b64 v156, v[21:22] offset:448
	ds_write_b64 v156, v[7:8] offset:768
	ds_write_b64 v156, v[19:20] offset:1088
	ds_write2_b64 v168, v[23:24], v[27:28] offset1:40
	ds_write2_b64 v168, v[13:14], v[25:26] offset0:80 offset1:120
	ds_write2_b64 v156, v[29:30], v[35:36] offset0:168 offset1:184
	;; [unrolled: 1-line block ×5, first 2 shown]
	s_waitcnt lgkmcnt(0)
	; wave barrier
	s_waitcnt lgkmcnt(0)
	ds_read2_b64 v[1:4], v156 offset1:16
	ds_read2_b64 v[5:8], v156 offset0:160 offset1:176
	ds_read2_b64 v[9:12], v156 offset0:32 offset1:48
	;; [unrolled: 1-line block ×6, first 2 shown]
	ds_read2_b64 v[29:32], v0 offset1:16
	ds_read2_b64 v[33:36], v156 offset0:128 offset1:144
	ds_read2_b64 v[37:40], v0 offset0:32 offset1:48
	s_waitcnt lgkmcnt(8)
	v_mul_f32_e32 v0, v142, v6
	v_fmac_f32_e32 v0, v141, v5
	v_mul_f32_e32 v5, v142, v5
	v_fma_f32 v6, v141, v6, -v5
	v_mul_f32_e32 v5, v140, v7
	v_mul_f32_e32 v41, v140, v8
	v_fma_f32 v8, v139, v8, -v5
	s_waitcnt lgkmcnt(6)
	v_mul_f32_e32 v5, v138, v13
	v_mul_f32_e32 v42, v138, v14
	v_fma_f32 v14, v137, v14, -v5
	v_mul_f32_e32 v5, v136, v15
	v_mul_f32_e32 v43, v136, v16
	v_fma_f32 v16, v135, v16, -v5
	s_waitcnt lgkmcnt(4)
	v_mul_f32_e32 v5, v150, v21
	;; [unrolled: 7-line block ×4, first 2 shown]
	v_fmac_f32_e32 v41, v139, v7
	v_mul_f32_e32 v48, v154, v38
	v_fma_f32 v38, v153, v38, -v5
	v_mul_f32_e32 v49, v152, v40
	v_mul_f32_e32 v5, v152, v39
	v_fmac_f32_e32 v42, v137, v13
	v_fmac_f32_e32 v43, v135, v15
	;; [unrolled: 1-line block ×8, first 2 shown]
	v_fma_f32 v40, v151, v40, -v5
	v_sub_f32_e32 v5, v1, v0
	v_sub_f32_e32 v6, v2, v6
	;; [unrolled: 1-line block ×4, first 2 shown]
	v_fma_f32 v0, v1, 2.0, -v5
	v_fma_f32 v1, v2, 2.0, -v6
	;; [unrolled: 1-line block ×4, first 2 shown]
	v_sub_f32_e32 v13, v9, v42
	v_sub_f32_e32 v14, v10, v14
	;; [unrolled: 1-line block ×16, first 2 shown]
	v_fma_f32 v9, v9, 2.0, -v13
	v_fma_f32 v10, v10, 2.0, -v14
	;; [unrolled: 1-line block ×16, first 2 shown]
	ds_write_b64 v156, v[5:6] offset:1280
	ds_write2_b64 v156, v[0:1], v[2:3] offset1:16
	ds_write_b64 v156, v[7:8] offset:1408
	ds_write_b64 v156, v[9:10] offset:256
	;; [unrolled: 1-line block ×7, first 2 shown]
	ds_write2_b64 v155, v[21:22], v[23:24] offset0:224 offset1:240
	ds_write_b64 v156, v[25:26] offset:768
	ds_write_b64 v155, v[27:28] offset:896
	ds_write2_b64 v159, v[29:30], v[31:32] offset1:16
	ds_write_b64 v156, v[33:34] offset:1024
	ds_write_b64 v155, v[35:36] offset:1152
	ds_write2_b64 v159, v[37:38], v[39:40] offset0:32 offset1:48
	s_waitcnt lgkmcnt(0)
	; wave barrier
	s_waitcnt lgkmcnt(0)
	ds_read2_b64 v[0:3], v156 offset1:16
	v_mad_u64_u32 v[8:9], s[6:7], s0, v157, 0
	v_mov_b32_e32 v14, s5
	s_waitcnt lgkmcnt(0)
	v_mul_f32_e32 v4, v110, v1
	v_fmac_f32_e32 v4, v109, v0
	v_cvt_f64_f32_e32 v[4:5], v4
	v_mul_f32_e32 v0, v110, v0
	v_fma_f32 v0, v109, v1, -v0
	v_cvt_f64_f32_e32 v[0:1], v0
	v_mul_f64 v[4:5], v[4:5], s[2:3]
	v_mov_b32_e32 v6, v9
	v_mad_u64_u32 v[9:10], s[6:7], s1, v157, v[6:7]
	v_mul_f64 v[0:1], v[0:1], s[2:3]
	v_cvt_f32_f64_e32 v10, v[4:5]
	ds_read2_b64 v[4:7], v156 offset0:32 offset1:48
	v_cvt_f32_f64_e32 v11, v[0:1]
	v_lshlrev_b64 v[0:1], 3, v[113:114]
	s_waitcnt lgkmcnt(0)
	v_mul_f32_e32 v12, v108, v5
	v_fmac_f32_e32 v12, v107, v4
	v_mul_f32_e32 v4, v108, v4
	v_fma_f32 v4, v107, v5, -v4
	v_cvt_f64_f32_e32 v[12:13], v12
	v_cvt_f64_f32_e32 v[4:5], v4
	v_add_co_u32_e32 v15, vcc, s4, v0
	v_addc_co_u32_e32 v14, vcc, v14, v1, vcc
	v_lshlrev_b64 v[0:1], 3, v[8:9]
	v_mul_f64 v[12:13], v[12:13], s[2:3]
	v_mul_f64 v[4:5], v[4:5], s[2:3]
	v_add_co_u32_e32 v0, vcc, v15, v0
	v_addc_co_u32_e32 v1, vcc, v14, v1, vcc
	global_store_dwordx2 v[0:1], v[10:11], off
	ds_read2_b64 v[8:11], v156 offset0:64 offset1:96
	v_cvt_f32_f64_e32 v12, v[12:13]
	v_cvt_f32_f64_e32 v13, v[4:5]
	s_lshl_b64 s[4:5], s[0:1], 8
	v_mov_b32_e32 v24, s5
	s_waitcnt lgkmcnt(0)
	v_mul_f32_e32 v4, v106, v9
	v_fmac_f32_e32 v4, v105, v8
	v_mul_f32_e32 v8, v106, v8
	v_fma_f32 v8, v105, v9, -v8
	v_cvt_f64_f32_e32 v[4:5], v4
	v_cvt_f64_f32_e32 v[8:9], v8
	v_add_co_u32_e32 v0, vcc, s4, v0
	v_addc_co_u32_e32 v1, vcc, v1, v24, vcc
	global_store_dwordx2 v[0:1], v[12:13], off
	v_mul_f32_e32 v12, v104, v11
	v_mul_f64 v[4:5], v[4:5], s[2:3]
	v_mul_f64 v[8:9], v[8:9], s[2:3]
	v_fmac_f32_e32 v12, v103, v10
	v_cvt_f64_f32_e32 v[12:13], v12
	v_mul_f32_e32 v10, v104, v10
	v_fma_f32 v10, v103, v11, -v10
	v_cvt_f64_f32_e32 v[10:11], v10
	v_mul_f64 v[12:13], v[12:13], s[2:3]
	v_cvt_f32_f64_e32 v4, v[4:5]
	v_cvt_f32_f64_e32 v5, v[8:9]
	v_mul_f64 v[14:15], v[10:11], s[2:3]
	ds_read2_b64 v[8:11], v156 offset0:128 offset1:160
	v_add_co_u32_e32 v0, vcc, s4, v0
	v_addc_co_u32_e32 v1, vcc, v1, v24, vcc
	global_store_dwordx2 v[0:1], v[4:5], off
	v_cvt_f32_f64_e32 v4, v[12:13]
	s_waitcnt lgkmcnt(0)
	v_mul_f32_e32 v12, v102, v9
	v_fmac_f32_e32 v12, v101, v8
	v_mul_f32_e32 v8, v102, v8
	v_cvt_f32_f64_e32 v5, v[14:15]
	v_cvt_f64_f32_e32 v[12:13], v12
	v_fma_f32 v8, v101, v9, -v8
	v_cvt_f64_f32_e32 v[8:9], v8
	v_add_co_u32_e32 v0, vcc, s4, v0
	v_addc_co_u32_e32 v1, vcc, v1, v24, vcc
	global_store_dwordx2 v[0:1], v[4:5], off
	v_mul_f64 v[4:5], v[12:13], s[2:3]
	v_mul_f32_e32 v12, v98, v11
	v_mul_f64 v[8:9], v[8:9], s[2:3]
	v_fmac_f32_e32 v12, v97, v10
	v_cvt_f64_f32_e32 v[12:13], v12
	v_mul_f32_e32 v10, v98, v10
	v_fma_f32 v10, v97, v11, -v10
	v_cvt_f64_f32_e32 v[10:11], v10
	v_mul_f64 v[12:13], v[12:13], s[2:3]
	v_cvt_f32_f64_e32 v4, v[4:5]
	v_cvt_f32_f64_e32 v5, v[8:9]
	v_mul_f64 v[14:15], v[10:11], s[2:3]
	ds_read2_b64 v[8:11], v155 offset0:144 offset1:192
	v_add_co_u32_e32 v0, vcc, s4, v0
	v_addc_co_u32_e32 v1, vcc, v1, v24, vcc
	global_store_dwordx2 v[0:1], v[4:5], off
	v_cvt_f32_f64_e32 v4, v[12:13]
	s_waitcnt lgkmcnt(0)
	v_mul_f32_e32 v12, v96, v11
	v_fmac_f32_e32 v12, v95, v10
	v_mul_f32_e32 v10, v96, v10
	v_fma_f32 v10, v95, v11, -v10
	v_cvt_f32_f64_e32 v5, v[14:15]
	v_cvt_f64_f32_e32 v[14:15], v12
	v_cvt_f64_f32_e32 v[16:17], v10
	ds_read2_b64 v[10:13], v155 offset0:208 offset1:224
	v_add_co_u32_e32 v0, vcc, s4, v0
	v_addc_co_u32_e32 v1, vcc, v1, v24, vcc
	global_store_dwordx2 v[0:1], v[4:5], off
	v_mul_f64 v[4:5], v[14:15], s[2:3]
	v_mul_f64 v[14:15], v[16:17], s[2:3]
	s_waitcnt lgkmcnt(0)
	v_mul_f32_e32 v16, v94, v13
	v_fmac_f32_e32 v16, v93, v12
	v_cvt_f64_f32_e32 v[16:17], v16
	v_mul_f32_e32 v12, v94, v12
	v_fma_f32 v12, v93, v13, -v12
	v_cvt_f64_f32_e32 v[12:13], v12
	v_mul_f64 v[16:17], v[16:17], s[2:3]
	v_cvt_f32_f64_e32 v4, v[4:5]
	v_cvt_f32_f64_e32 v5, v[14:15]
	v_mul_f64 v[18:19], v[12:13], s[2:3]
	ds_read2_b64 v[12:15], v166 offset0:112 offset1:128
	v_add_co_u32_e32 v0, vcc, s4, v0
	v_addc_co_u32_e32 v1, vcc, v1, v24, vcc
	global_store_dwordx2 v[0:1], v[4:5], off
	v_cvt_f32_f64_e32 v4, v[16:17]
	s_waitcnt lgkmcnt(0)
	v_mul_f32_e32 v16, v92, v15
	v_fmac_f32_e32 v16, v91, v14
	v_mul_f32_e32 v14, v92, v14
	v_fma_f32 v14, v91, v15, -v14
	v_cvt_f32_f64_e32 v5, v[18:19]
	v_cvt_f64_f32_e32 v[18:19], v16
	v_cvt_f64_f32_e32 v[20:21], v14
	ds_read2_b64 v[14:17], v159 offset0:16 offset1:32
	v_add_co_u32_e32 v0, vcc, s4, v0
	v_mul_f64 v[18:19], v[18:19], s[2:3]
	v_mul_f64 v[20:21], v[20:21], s[2:3]
	s_waitcnt lgkmcnt(0)
	v_mul_f32_e32 v22, v112, v17
	v_fmac_f32_e32 v22, v111, v16
	v_mul_f32_e32 v16, v112, v16
	v_fma_f32 v16, v111, v17, -v16
	v_cvt_f64_f32_e32 v[16:17], v16
	v_cvt_f64_f32_e32 v[22:23], v22
	v_addc_co_u32_e32 v1, vcc, v1, v24, vcc
	v_mul_f64 v[16:17], v[16:17], s[2:3]
	global_store_dwordx2 v[0:1], v[4:5], off
	v_cvt_f32_f64_e32 v4, v[18:19]
	v_mul_f64 v[18:19], v[22:23], s[2:3]
	v_cvt_f32_f64_e32 v5, v[20:21]
	v_add_co_u32_e32 v0, vcc, s4, v0
	v_addc_co_u32_e32 v1, vcc, v1, v24, vcc
	global_store_dwordx2 v[0:1], v[4:5], off
	v_cvt_f32_f64_e32 v5, v[16:17]
	v_mul_f32_e32 v16, v90, v3
	v_fmac_f32_e32 v16, v89, v2
	v_cvt_f32_f64_e32 v4, v[18:19]
	v_cvt_f64_f32_e32 v[16:17], v16
	v_mul_f32_e32 v2, v90, v2
	v_fma_f32 v2, v89, v3, -v2
	v_cvt_f64_f32_e32 v[2:3], v2
	v_add_co_u32_e32 v0, vcc, s4, v0
	v_addc_co_u32_e32 v1, vcc, v1, v24, vcc
	global_store_dwordx2 v[0:1], v[4:5], off
	v_mul_f64 v[4:5], v[16:17], s[2:3]
	v_mul_f32_e32 v16, v86, v7
	v_fmac_f32_e32 v16, v85, v6
	v_mul_f32_e32 v6, v86, v6
	v_mul_f64 v[2:3], v[2:3], s[2:3]
	v_fma_f32 v6, v85, v7, -v6
	v_cvt_f64_f32_e32 v[6:7], v6
	v_cvt_f64_f32_e32 v[16:17], v16
	v_cvt_f32_f64_e32 v4, v[4:5]
	v_mad_u64_u32 v[18:19], s[6:7], s0, v158, v[0:1]
	v_mul_f64 v[6:7], v[6:7], s[2:3]
	v_cvt_f32_f64_e32 v5, v[2:3]
	ds_read2_b64 v[0:3], v155 offset0:80 offset1:112
	s_mulk_i32 s1, 0xf780
	s_sub_i32 s0, s1, s0
	v_mul_f64 v[16:17], v[16:17], s[2:3]
	v_add_u32_e32 v19, s0, v19
	global_store_dwordx2 v[18:19], v[4:5], off
	v_cvt_f32_f64_e32 v5, v[6:7]
	s_waitcnt lgkmcnt(0)
	v_mul_f32_e32 v6, v84, v1
	v_fmac_f32_e32 v6, v83, v0
	v_cvt_f64_f32_e32 v[6:7], v6
	v_mul_f32_e32 v0, v84, v0
	v_fma_f32 v0, v83, v1, -v0
	v_cvt_f64_f32_e32 v[0:1], v0
	v_mul_f64 v[6:7], v[6:7], s[2:3]
	v_cvt_f32_f64_e32 v4, v[16:17]
	v_add_co_u32_e32 v16, vcc, s4, v18
	v_mul_f32_e32 v18, v74, v3
	v_fmac_f32_e32 v18, v73, v2
	v_mul_f32_e32 v2, v74, v2
	v_fma_f32 v2, v73, v3, -v2
	v_addc_co_u32_e32 v17, vcc, v19, v24, vcc
	v_mul_f64 v[0:1], v[0:1], s[2:3]
	v_cvt_f64_f32_e32 v[18:19], v18
	v_cvt_f64_f32_e32 v[2:3], v2
	global_store_dwordx2 v[16:17], v[4:5], off
	v_cvt_f32_f64_e32 v4, v[6:7]
	v_mul_f64 v[6:7], v[18:19], s[2:3]
	v_mul_f64 v[2:3], v[2:3], s[2:3]
	v_cvt_f32_f64_e32 v5, v[0:1]
	v_add_co_u32_e32 v0, vcc, s4, v16
	v_addc_co_u32_e32 v1, vcc, v17, v24, vcc
	global_store_dwordx2 v[0:1], v[4:5], off
	v_cvt_f32_f64_e32 v4, v[6:7]
	v_cvt_f32_f64_e32 v5, v[2:3]
	v_mul_f32_e32 v2, v100, v9
	v_mul_f32_e32 v6, v100, v8
	v_fmac_f32_e32 v2, v99, v8
	v_fma_f32 v6, v99, v9, -v6
	ds_read_b64 v[8:9], v156 offset:1408
	ds_read_b64 v[16:17], v155 offset:2432
	v_cvt_f64_f32_e32 v[2:3], v2
	v_cvt_f64_f32_e32 v[6:7], v6
	v_add_co_u32_e32 v0, vcc, s4, v0
	s_waitcnt lgkmcnt(1)
	v_mul_f32_e32 v18, v76, v9
	v_fmac_f32_e32 v18, v75, v8
	v_mul_f64 v[2:3], v[2:3], s[2:3]
	v_mul_f64 v[6:7], v[6:7], s[2:3]
	v_cvt_f64_f32_e32 v[18:19], v18
	v_addc_co_u32_e32 v1, vcc, v1, v24, vcc
	global_store_dwordx2 v[0:1], v[4:5], off
	v_mul_f64 v[4:5], v[18:19], s[2:3]
	v_mul_f32_e32 v8, v76, v8
	v_fma_f32 v8, v75, v9, -v8
	v_cvt_f64_f32_e32 v[8:9], v8
	v_cvt_f32_f64_e32 v2, v[2:3]
	v_cvt_f32_f64_e32 v3, v[6:7]
	v_add_co_u32_e32 v0, vcc, s4, v0
	v_addc_co_u32_e32 v1, vcc, v1, v24, vcc
	v_mul_f64 v[8:9], v[8:9], s[2:3]
	global_store_dwordx2 v[0:1], v[2:3], off
	v_cvt_f32_f64_e32 v2, v[4:5]
	v_mul_f32_e32 v4, v82, v11
	v_fmac_f32_e32 v4, v81, v10
	v_cvt_f64_f32_e32 v[4:5], v4
	v_mul_f32_e32 v6, v82, v10
	v_fma_f32 v6, v81, v11, -v6
	v_cvt_f64_f32_e32 v[6:7], v6
	v_mul_f64 v[4:5], v[4:5], s[2:3]
	v_cvt_f32_f64_e32 v3, v[8:9]
	v_mul_f32_e32 v8, v78, v13
	v_fmac_f32_e32 v8, v77, v12
	v_mul_f64 v[6:7], v[6:7], s[2:3]
	v_cvt_f64_f32_e32 v[8:9], v8
	v_add_co_u32_e32 v0, vcc, s4, v0
	v_addc_co_u32_e32 v1, vcc, v1, v24, vcc
	global_store_dwordx2 v[0:1], v[2:3], off
	v_cvt_f32_f64_e32 v2, v[4:5]
	v_mul_f64 v[4:5], v[8:9], s[2:3]
	v_mul_f32_e32 v10, v78, v12
	v_fma_f32 v10, v77, v13, -v10
	v_cvt_f64_f32_e32 v[10:11], v10
	v_cvt_f32_f64_e32 v3, v[6:7]
	v_add_co_u32_e32 v0, vcc, s4, v0
	v_addc_co_u32_e32 v1, vcc, v1, v24, vcc
	v_mul_f64 v[8:9], v[10:11], s[2:3]
	global_store_dwordx2 v[0:1], v[2:3], off
	v_cvt_f32_f64_e32 v2, v[4:5]
	v_mul_f32_e32 v4, v88, v15
	v_fmac_f32_e32 v4, v87, v14
	v_cvt_f64_f32_e32 v[4:5], v4
	v_mul_f32_e32 v6, v88, v14
	v_fma_f32 v6, v87, v15, -v6
	v_cvt_f64_f32_e32 v[6:7], v6
	v_mul_f64 v[4:5], v[4:5], s[2:3]
	v_cvt_f32_f64_e32 v3, v[8:9]
	s_waitcnt lgkmcnt(0)
	v_mul_f32_e32 v8, v80, v17
	v_mul_f32_e32 v10, v80, v16
	v_fmac_f32_e32 v8, v79, v16
	v_fma_f32 v10, v79, v17, -v10
	v_mul_f64 v[6:7], v[6:7], s[2:3]
	v_cvt_f64_f32_e32 v[8:9], v8
	v_cvt_f64_f32_e32 v[10:11], v10
	v_add_co_u32_e32 v0, vcc, s4, v0
	v_addc_co_u32_e32 v1, vcc, v1, v24, vcc
	global_store_dwordx2 v[0:1], v[2:3], off
	v_cvt_f32_f64_e32 v2, v[4:5]
	v_mul_f64 v[4:5], v[8:9], s[2:3]
	v_mul_f64 v[8:9], v[10:11], s[2:3]
	v_cvt_f32_f64_e32 v3, v[6:7]
	v_add_co_u32_e32 v0, vcc, s4, v0
	v_addc_co_u32_e32 v1, vcc, v1, v24, vcc
	global_store_dwordx2 v[0:1], v[2:3], off
	v_cvt_f32_f64_e32 v2, v[4:5]
	v_cvt_f32_f64_e32 v3, v[8:9]
	v_add_co_u32_e32 v0, vcc, s4, v0
	v_addc_co_u32_e32 v1, vcc, v1, v24, vcc
	global_store_dwordx2 v[0:1], v[2:3], off
.LBB0_2:
	s_endpgm
	.section	.rodata,"a",@progbits
	.p2align	6, 0x0
	.amdhsa_kernel bluestein_single_fwd_len320_dim1_sp_op_CI_CI
		.amdhsa_group_segment_fixed_size 10240
		.amdhsa_private_segment_fixed_size 0
		.amdhsa_kernarg_size 104
		.amdhsa_user_sgpr_count 6
		.amdhsa_user_sgpr_private_segment_buffer 1
		.amdhsa_user_sgpr_dispatch_ptr 0
		.amdhsa_user_sgpr_queue_ptr 0
		.amdhsa_user_sgpr_kernarg_segment_ptr 1
		.amdhsa_user_sgpr_dispatch_id 0
		.amdhsa_user_sgpr_flat_scratch_init 0
		.amdhsa_user_sgpr_private_segment_size 0
		.amdhsa_uses_dynamic_stack 0
		.amdhsa_system_sgpr_private_segment_wavefront_offset 0
		.amdhsa_system_sgpr_workgroup_id_x 1
		.amdhsa_system_sgpr_workgroup_id_y 0
		.amdhsa_system_sgpr_workgroup_id_z 0
		.amdhsa_system_sgpr_workgroup_info 0
		.amdhsa_system_vgpr_workitem_id 0
		.amdhsa_next_free_vgpr 206
		.amdhsa_next_free_sgpr 20
		.amdhsa_reserve_vcc 1
		.amdhsa_reserve_flat_scratch 0
		.amdhsa_float_round_mode_32 0
		.amdhsa_float_round_mode_16_64 0
		.amdhsa_float_denorm_mode_32 3
		.amdhsa_float_denorm_mode_16_64 3
		.amdhsa_dx10_clamp 1
		.amdhsa_ieee_mode 1
		.amdhsa_fp16_overflow 0
		.amdhsa_exception_fp_ieee_invalid_op 0
		.amdhsa_exception_fp_denorm_src 0
		.amdhsa_exception_fp_ieee_div_zero 0
		.amdhsa_exception_fp_ieee_overflow 0
		.amdhsa_exception_fp_ieee_underflow 0
		.amdhsa_exception_fp_ieee_inexact 0
		.amdhsa_exception_int_div_zero 0
	.end_amdhsa_kernel
	.text
.Lfunc_end0:
	.size	bluestein_single_fwd_len320_dim1_sp_op_CI_CI, .Lfunc_end0-bluestein_single_fwd_len320_dim1_sp_op_CI_CI
                                        ; -- End function
	.section	.AMDGPU.csdata,"",@progbits
; Kernel info:
; codeLenInByte = 13984
; NumSgprs: 24
; NumVgprs: 206
; ScratchSize: 0
; MemoryBound: 0
; FloatMode: 240
; IeeeMode: 1
; LDSByteSize: 10240 bytes/workgroup (compile time only)
; SGPRBlocks: 2
; VGPRBlocks: 51
; NumSGPRsForWavesPerEU: 24
; NumVGPRsForWavesPerEU: 206
; Occupancy: 1
; WaveLimiterHint : 1
; COMPUTE_PGM_RSRC2:SCRATCH_EN: 0
; COMPUTE_PGM_RSRC2:USER_SGPR: 6
; COMPUTE_PGM_RSRC2:TRAP_HANDLER: 0
; COMPUTE_PGM_RSRC2:TGID_X_EN: 1
; COMPUTE_PGM_RSRC2:TGID_Y_EN: 0
; COMPUTE_PGM_RSRC2:TGID_Z_EN: 0
; COMPUTE_PGM_RSRC2:TIDIG_COMP_CNT: 0
	.type	__hip_cuid_a048c35a91708391,@object ; @__hip_cuid_a048c35a91708391
	.section	.bss,"aw",@nobits
	.globl	__hip_cuid_a048c35a91708391
__hip_cuid_a048c35a91708391:
	.byte	0                               ; 0x0
	.size	__hip_cuid_a048c35a91708391, 1

	.ident	"AMD clang version 19.0.0git (https://github.com/RadeonOpenCompute/llvm-project roc-6.4.0 25133 c7fe45cf4b819c5991fe208aaa96edf142730f1d)"
	.section	".note.GNU-stack","",@progbits
	.addrsig
	.addrsig_sym __hip_cuid_a048c35a91708391
	.amdgpu_metadata
---
amdhsa.kernels:
  - .args:
      - .actual_access:  read_only
        .address_space:  global
        .offset:         0
        .size:           8
        .value_kind:     global_buffer
      - .actual_access:  read_only
        .address_space:  global
        .offset:         8
        .size:           8
        .value_kind:     global_buffer
      - .actual_access:  read_only
        .address_space:  global
        .offset:         16
        .size:           8
        .value_kind:     global_buffer
      - .actual_access:  read_only
        .address_space:  global
        .offset:         24
        .size:           8
        .value_kind:     global_buffer
      - .actual_access:  read_only
        .address_space:  global
        .offset:         32
        .size:           8
        .value_kind:     global_buffer
      - .offset:         40
        .size:           8
        .value_kind:     by_value
      - .address_space:  global
        .offset:         48
        .size:           8
        .value_kind:     global_buffer
      - .address_space:  global
        .offset:         56
        .size:           8
        .value_kind:     global_buffer
      - .address_space:  global
        .offset:         64
        .size:           8
        .value_kind:     global_buffer
      - .address_space:  global
        .offset:         72
        .size:           8
        .value_kind:     global_buffer
      - .offset:         80
        .size:           4
        .value_kind:     by_value
      - .address_space:  global
        .offset:         88
        .size:           8
        .value_kind:     global_buffer
      - .address_space:  global
        .offset:         96
        .size:           8
        .value_kind:     global_buffer
    .group_segment_fixed_size: 10240
    .kernarg_segment_align: 8
    .kernarg_segment_size: 104
    .language:       OpenCL C
    .language_version:
      - 2
      - 0
    .max_flat_workgroup_size: 64
    .name:           bluestein_single_fwd_len320_dim1_sp_op_CI_CI
    .private_segment_fixed_size: 0
    .sgpr_count:     24
    .sgpr_spill_count: 0
    .symbol:         bluestein_single_fwd_len320_dim1_sp_op_CI_CI.kd
    .uniform_work_group_size: 1
    .uses_dynamic_stack: false
    .vgpr_count:     206
    .vgpr_spill_count: 0
    .wavefront_size: 64
amdhsa.target:   amdgcn-amd-amdhsa--gfx906
amdhsa.version:
  - 1
  - 2
...

	.end_amdgpu_metadata
